;; amdgpu-corpus repo=ROCm/rocFFT kind=compiled arch=gfx1201 opt=O3
	.text
	.amdgcn_target "amdgcn-amd-amdhsa--gfx1201"
	.amdhsa_code_object_version 6
	.protected	fft_rtc_back_len825_factors_11_5_5_3_wgs_55_tpt_55_half_op_CI_CI_sbrr_dirReg ; -- Begin function fft_rtc_back_len825_factors_11_5_5_3_wgs_55_tpt_55_half_op_CI_CI_sbrr_dirReg
	.globl	fft_rtc_back_len825_factors_11_5_5_3_wgs_55_tpt_55_half_op_CI_CI_sbrr_dirReg
	.p2align	8
	.type	fft_rtc_back_len825_factors_11_5_5_3_wgs_55_tpt_55_half_op_CI_CI_sbrr_dirReg,@function
fft_rtc_back_len825_factors_11_5_5_3_wgs_55_tpt_55_half_op_CI_CI_sbrr_dirReg: ; @fft_rtc_back_len825_factors_11_5_5_3_wgs_55_tpt_55_half_op_CI_CI_sbrr_dirReg
; %bb.0:
	s_clause 0x2
	s_load_b128 s[12:15], s[0:1], 0x18
	s_load_b128 s[8:11], s[0:1], 0x0
	;; [unrolled: 1-line block ×3, first 2 shown]
	v_mul_u32_u24_e32 v1, 0x4a8, v0
	v_mov_b32_e32 v7, 0
	v_mov_b32_e32 v5, 0
	;; [unrolled: 1-line block ×3, first 2 shown]
	s_wait_kmcnt 0x0
	s_load_b64 s[18:19], s[12:13], 0x0
	s_load_b64 s[16:17], s[14:15], 0x0
	v_lshrrev_b32_e32 v1, 16, v1
	v_cmp_lt_u64_e64 s2, s[10:11], 2
	s_delay_alu instid0(VALU_DEP_2) | instskip(NEXT) | instid1(VALU_DEP_2)
	v_dual_mov_b32 v10, v7 :: v_dual_add_nc_u32 v9, ttmp9, v1
	s_and_b32 vcc_lo, exec_lo, s2
	s_cbranch_vccnz .LBB0_8
; %bb.1:
	s_load_b64 s[2:3], s[0:1], 0x10
	v_mov_b32_e32 v5, 0
	v_mov_b32_e32 v6, 0
	s_delay_alu instid0(VALU_DEP_2)
	v_mov_b32_e32 v1, v5
	s_add_nc_u64 s[20:21], s[14:15], 8
	s_add_nc_u64 s[22:23], s[12:13], 8
	s_mov_b64 s[24:25], 1
	v_mov_b32_e32 v2, v6
	s_wait_kmcnt 0x0
	s_add_nc_u64 s[26:27], s[2:3], 8
	s_mov_b32 s3, 0
.LBB0_2:                                ; =>This Inner Loop Header: Depth=1
	s_load_b64 s[28:29], s[26:27], 0x0
                                        ; implicit-def: $vgpr3_vgpr4
	s_mov_b32 s2, exec_lo
	s_wait_kmcnt 0x0
	v_or_b32_e32 v8, s29, v10
	s_delay_alu instid0(VALU_DEP_1)
	v_cmpx_ne_u64_e32 0, v[7:8]
	s_wait_alu 0xfffe
	s_xor_b32 s30, exec_lo, s2
	s_cbranch_execz .LBB0_4
; %bb.3:                                ;   in Loop: Header=BB0_2 Depth=1
	s_cvt_f32_u32 s2, s28
	s_cvt_f32_u32 s31, s29
	s_sub_nc_u64 s[36:37], 0, s[28:29]
	s_wait_alu 0xfffe
	s_delay_alu instid0(SALU_CYCLE_1) | instskip(SKIP_1) | instid1(SALU_CYCLE_2)
	s_fmamk_f32 s2, s31, 0x4f800000, s2
	s_wait_alu 0xfffe
	v_s_rcp_f32 s2, s2
	s_delay_alu instid0(TRANS32_DEP_1) | instskip(SKIP_1) | instid1(SALU_CYCLE_2)
	s_mul_f32 s2, s2, 0x5f7ffffc
	s_wait_alu 0xfffe
	s_mul_f32 s31, s2, 0x2f800000
	s_wait_alu 0xfffe
	s_delay_alu instid0(SALU_CYCLE_2) | instskip(SKIP_1) | instid1(SALU_CYCLE_2)
	s_trunc_f32 s31, s31
	s_wait_alu 0xfffe
	s_fmamk_f32 s2, s31, 0xcf800000, s2
	s_cvt_u32_f32 s35, s31
	s_wait_alu 0xfffe
	s_delay_alu instid0(SALU_CYCLE_1) | instskip(SKIP_1) | instid1(SALU_CYCLE_2)
	s_cvt_u32_f32 s34, s2
	s_wait_alu 0xfffe
	s_mul_u64 s[38:39], s[36:37], s[34:35]
	s_wait_alu 0xfffe
	s_mul_hi_u32 s41, s34, s39
	s_mul_i32 s40, s34, s39
	s_mul_hi_u32 s2, s34, s38
	s_mul_i32 s33, s35, s38
	s_wait_alu 0xfffe
	s_add_nc_u64 s[40:41], s[2:3], s[40:41]
	s_mul_hi_u32 s31, s35, s38
	s_mul_hi_u32 s42, s35, s39
	s_add_co_u32 s2, s40, s33
	s_wait_alu 0xfffe
	s_add_co_ci_u32 s2, s41, s31
	s_mul_i32 s38, s35, s39
	s_add_co_ci_u32 s39, s42, 0
	s_wait_alu 0xfffe
	s_add_nc_u64 s[38:39], s[2:3], s[38:39]
	s_wait_alu 0xfffe
	v_add_co_u32 v3, s2, s34, s38
	s_delay_alu instid0(VALU_DEP_1) | instskip(SKIP_1) | instid1(VALU_DEP_1)
	s_cmp_lg_u32 s2, 0
	s_add_co_ci_u32 s35, s35, s39
	v_readfirstlane_b32 s34, v3
	s_wait_alu 0xfffe
	s_delay_alu instid0(VALU_DEP_1)
	s_mul_u64 s[36:37], s[36:37], s[34:35]
	s_wait_alu 0xfffe
	s_mul_hi_u32 s39, s34, s37
	s_mul_i32 s38, s34, s37
	s_mul_hi_u32 s2, s34, s36
	s_mul_i32 s33, s35, s36
	s_wait_alu 0xfffe
	s_add_nc_u64 s[38:39], s[2:3], s[38:39]
	s_mul_hi_u32 s31, s35, s36
	s_mul_hi_u32 s34, s35, s37
	s_wait_alu 0xfffe
	s_add_co_u32 s2, s38, s33
	s_add_co_ci_u32 s2, s39, s31
	s_mul_i32 s36, s35, s37
	s_add_co_ci_u32 s37, s34, 0
	s_wait_alu 0xfffe
	s_add_nc_u64 s[36:37], s[2:3], s[36:37]
	s_wait_alu 0xfffe
	v_add_co_u32 v8, s2, v3, s36
	s_delay_alu instid0(VALU_DEP_1) | instskip(SKIP_1) | instid1(VALU_DEP_1)
	s_cmp_lg_u32 s2, 0
	s_add_co_ci_u32 s2, s35, s37
	v_mul_hi_u32 v15, v9, v8
	s_wait_alu 0xfffe
	v_mad_co_u64_u32 v[3:4], null, v9, s2, 0
	v_mad_co_u64_u32 v[11:12], null, v10, v8, 0
	;; [unrolled: 1-line block ×3, first 2 shown]
	s_delay_alu instid0(VALU_DEP_3) | instskip(SKIP_1) | instid1(VALU_DEP_4)
	v_add_co_u32 v3, vcc_lo, v15, v3
	s_wait_alu 0xfffd
	v_add_co_ci_u32_e32 v4, vcc_lo, 0, v4, vcc_lo
	s_delay_alu instid0(VALU_DEP_2) | instskip(SKIP_1) | instid1(VALU_DEP_2)
	v_add_co_u32 v3, vcc_lo, v3, v11
	s_wait_alu 0xfffd
	v_add_co_ci_u32_e32 v3, vcc_lo, v4, v12, vcc_lo
	s_wait_alu 0xfffd
	v_add_co_ci_u32_e32 v4, vcc_lo, 0, v14, vcc_lo
	s_delay_alu instid0(VALU_DEP_2) | instskip(SKIP_1) | instid1(VALU_DEP_2)
	v_add_co_u32 v8, vcc_lo, v3, v13
	s_wait_alu 0xfffd
	v_add_co_ci_u32_e32 v11, vcc_lo, 0, v4, vcc_lo
	s_delay_alu instid0(VALU_DEP_2) | instskip(SKIP_1) | instid1(VALU_DEP_3)
	v_mul_lo_u32 v12, s29, v8
	v_mad_co_u64_u32 v[3:4], null, s28, v8, 0
	v_mul_lo_u32 v13, s28, v11
	s_delay_alu instid0(VALU_DEP_2) | instskip(NEXT) | instid1(VALU_DEP_2)
	v_sub_co_u32 v3, vcc_lo, v9, v3
	v_add3_u32 v4, v4, v13, v12
	s_delay_alu instid0(VALU_DEP_1) | instskip(SKIP_1) | instid1(VALU_DEP_1)
	v_sub_nc_u32_e32 v12, v10, v4
	s_wait_alu 0xfffd
	v_subrev_co_ci_u32_e64 v12, s2, s29, v12, vcc_lo
	v_add_co_u32 v13, s2, v8, 2
	s_wait_alu 0xf1ff
	v_add_co_ci_u32_e64 v14, s2, 0, v11, s2
	v_sub_co_u32 v15, s2, v3, s28
	v_sub_co_ci_u32_e32 v4, vcc_lo, v10, v4, vcc_lo
	s_wait_alu 0xf1ff
	v_subrev_co_ci_u32_e64 v12, s2, 0, v12, s2
	s_delay_alu instid0(VALU_DEP_3) | instskip(NEXT) | instid1(VALU_DEP_3)
	v_cmp_le_u32_e32 vcc_lo, s28, v15
	v_cmp_eq_u32_e64 s2, s29, v4
	s_wait_alu 0xfffd
	v_cndmask_b32_e64 v15, 0, -1, vcc_lo
	v_cmp_le_u32_e32 vcc_lo, s29, v12
	s_wait_alu 0xfffd
	v_cndmask_b32_e64 v16, 0, -1, vcc_lo
	v_cmp_le_u32_e32 vcc_lo, s28, v3
	;; [unrolled: 3-line block ×3, first 2 shown]
	s_wait_alu 0xfffd
	v_cndmask_b32_e64 v17, 0, -1, vcc_lo
	v_cmp_eq_u32_e32 vcc_lo, s29, v12
	s_wait_alu 0xf1ff
	s_delay_alu instid0(VALU_DEP_2)
	v_cndmask_b32_e64 v3, v17, v3, s2
	s_wait_alu 0xfffd
	v_cndmask_b32_e32 v12, v16, v15, vcc_lo
	v_add_co_u32 v15, vcc_lo, v8, 1
	s_wait_alu 0xfffd
	v_add_co_ci_u32_e32 v16, vcc_lo, 0, v11, vcc_lo
	s_delay_alu instid0(VALU_DEP_3) | instskip(SKIP_1) | instid1(VALU_DEP_2)
	v_cmp_ne_u32_e32 vcc_lo, 0, v12
	s_wait_alu 0xfffd
	v_cndmask_b32_e32 v4, v16, v14, vcc_lo
	v_cndmask_b32_e32 v12, v15, v13, vcc_lo
	v_cmp_ne_u32_e32 vcc_lo, 0, v3
	s_wait_alu 0xfffd
	s_delay_alu instid0(VALU_DEP_3) | instskip(NEXT) | instid1(VALU_DEP_3)
	v_cndmask_b32_e32 v4, v11, v4, vcc_lo
	v_cndmask_b32_e32 v3, v8, v12, vcc_lo
.LBB0_4:                                ;   in Loop: Header=BB0_2 Depth=1
	s_wait_alu 0xfffe
	s_and_not1_saveexec_b32 s2, s30
	s_cbranch_execz .LBB0_6
; %bb.5:                                ;   in Loop: Header=BB0_2 Depth=1
	v_cvt_f32_u32_e32 v3, s28
	s_sub_co_i32 s30, 0, s28
	s_delay_alu instid0(VALU_DEP_1) | instskip(NEXT) | instid1(TRANS32_DEP_1)
	v_rcp_iflag_f32_e32 v3, v3
	v_mul_f32_e32 v3, 0x4f7ffffe, v3
	s_delay_alu instid0(VALU_DEP_1) | instskip(SKIP_1) | instid1(VALU_DEP_1)
	v_cvt_u32_f32_e32 v3, v3
	s_wait_alu 0xfffe
	v_mul_lo_u32 v4, s30, v3
	s_delay_alu instid0(VALU_DEP_1) | instskip(NEXT) | instid1(VALU_DEP_1)
	v_mul_hi_u32 v4, v3, v4
	v_add_nc_u32_e32 v3, v3, v4
	s_delay_alu instid0(VALU_DEP_1) | instskip(NEXT) | instid1(VALU_DEP_1)
	v_mul_hi_u32 v3, v9, v3
	v_mul_lo_u32 v4, v3, s28
	v_add_nc_u32_e32 v8, 1, v3
	s_delay_alu instid0(VALU_DEP_2) | instskip(NEXT) | instid1(VALU_DEP_1)
	v_sub_nc_u32_e32 v4, v9, v4
	v_subrev_nc_u32_e32 v11, s28, v4
	v_cmp_le_u32_e32 vcc_lo, s28, v4
	s_wait_alu 0xfffd
	s_delay_alu instid0(VALU_DEP_2) | instskip(NEXT) | instid1(VALU_DEP_1)
	v_dual_cndmask_b32 v4, v4, v11 :: v_dual_cndmask_b32 v3, v3, v8
	v_cmp_le_u32_e32 vcc_lo, s28, v4
	s_delay_alu instid0(VALU_DEP_2) | instskip(SKIP_2) | instid1(VALU_DEP_2)
	v_add_nc_u32_e32 v8, 1, v3
	v_mov_b32_e32 v4, v7
	s_wait_alu 0xfffd
	v_cndmask_b32_e32 v3, v3, v8, vcc_lo
.LBB0_6:                                ;   in Loop: Header=BB0_2 Depth=1
	s_wait_alu 0xfffe
	s_or_b32 exec_lo, exec_lo, s2
	v_mul_lo_u32 v8, v4, s28
	s_delay_alu instid0(VALU_DEP_2)
	v_mul_lo_u32 v13, v3, s29
	s_load_b64 s[30:31], s[22:23], 0x0
	v_mad_co_u64_u32 v[11:12], null, v3, s28, 0
	s_load_b64 s[28:29], s[20:21], 0x0
	s_add_nc_u64 s[24:25], s[24:25], 1
	s_add_nc_u64 s[20:21], s[20:21], 8
	s_wait_alu 0xfffe
	v_cmp_ge_u64_e64 s2, s[24:25], s[10:11]
	s_add_nc_u64 s[22:23], s[22:23], 8
	s_add_nc_u64 s[26:27], s[26:27], 8
	v_add3_u32 v8, v12, v13, v8
	v_sub_co_u32 v9, vcc_lo, v9, v11
	s_wait_alu 0xfffd
	s_delay_alu instid0(VALU_DEP_2) | instskip(SKIP_2) | instid1(VALU_DEP_1)
	v_sub_co_ci_u32_e32 v8, vcc_lo, v10, v8, vcc_lo
	s_and_b32 vcc_lo, exec_lo, s2
	s_wait_kmcnt 0x0
	v_mul_lo_u32 v10, s30, v8
	v_mul_lo_u32 v11, s31, v9
	v_mad_co_u64_u32 v[5:6], null, s30, v9, v[5:6]
	v_mul_lo_u32 v8, s28, v8
	v_mul_lo_u32 v12, s29, v9
	v_mad_co_u64_u32 v[1:2], null, s28, v9, v[1:2]
	s_delay_alu instid0(VALU_DEP_4) | instskip(NEXT) | instid1(VALU_DEP_2)
	v_add3_u32 v6, v11, v6, v10
	v_add3_u32 v2, v12, v2, v8
	s_wait_alu 0xfffe
	s_cbranch_vccnz .LBB0_9
; %bb.7:                                ;   in Loop: Header=BB0_2 Depth=1
	v_dual_mov_b32 v10, v4 :: v_dual_mov_b32 v9, v3
	s_branch .LBB0_2
.LBB0_8:
	v_dual_mov_b32 v1, v5 :: v_dual_mov_b32 v2, v6
	s_delay_alu instid0(VALU_DEP_2)
	v_dual_mov_b32 v3, v9 :: v_dual_mov_b32 v4, v10
.LBB0_9:
	s_load_b64 s[0:1], s[0:1], 0x28
	v_mul_hi_u32 v7, 0x4a7904b, v0
	s_lshl_b64 s[10:11], s[10:11], 3
                                        ; implicit-def: $vgpr27
                                        ; implicit-def: $vgpr31
	s_wait_kmcnt 0x0
	v_cmp_gt_u64_e32 vcc_lo, s[0:1], v[3:4]
	v_cmp_le_u64_e64 s0, s[0:1], v[3:4]
	s_delay_alu instid0(VALU_DEP_1)
	s_and_saveexec_b32 s1, s0
	s_wait_alu 0xfffe
	s_xor_b32 s0, exec_lo, s1
; %bb.10:
	v_mul_u32_u24_e32 v5, 55, v7
                                        ; implicit-def: $vgpr7
	s_delay_alu instid0(VALU_DEP_1) | instskip(NEXT) | instid1(VALU_DEP_1)
	v_sub_nc_u32_e32 v27, v0, v5
                                        ; implicit-def: $vgpr0
                                        ; implicit-def: $vgpr5_vgpr6
	v_add_nc_u32_e32 v31, 55, v27
; %bb.11:
	s_wait_alu 0xfffe
	s_or_saveexec_b32 s1, s0
	s_add_nc_u64 s[2:3], s[14:15], s[10:11]
	s_wait_alu 0xfffe
	s_xor_b32 exec_lo, exec_lo, s1
	s_cbranch_execz .LBB0_13
; %bb.12:
	v_mul_u32_u24_e32 v7, 55, v7
	s_add_nc_u64 s[10:11], s[12:13], s[10:11]
	v_lshlrev_b64_e32 v[5:6], 2, v[5:6]
	s_load_b64 s[10:11], s[10:11], 0x0
	s_delay_alu instid0(VALU_DEP_2) | instskip(NEXT) | instid1(VALU_DEP_1)
	v_sub_nc_u32_e32 v27, v0, v7
	v_mad_co_u64_u32 v[7:8], null, s18, v27, 0
	v_add_nc_u32_e32 v31, 55, v27
	v_add_nc_u32_e32 v22, 0xa5, v27
	;; [unrolled: 1-line block ×3, first 2 shown]
	s_delay_alu instid0(VALU_DEP_4) | instskip(NEXT) | instid1(VALU_DEP_4)
	v_dual_mov_b32 v0, v8 :: v_dual_add_nc_u32 v25, 0x181, v27
	v_mad_co_u64_u32 v[9:10], null, s18, v31, 0
	v_add_nc_u32_e32 v21, 0x6e, v27
	s_wait_kmcnt 0x0
	v_mul_lo_u32 v8, s11, v3
	v_mul_lo_u32 v18, s10, v4
	v_mad_co_u64_u32 v[13:14], null, s10, v3, 0
	v_mad_co_u64_u32 v[15:16], null, s19, v27, v[0:1]
	v_mov_b32_e32 v0, v10
	v_mad_co_u64_u32 v[11:12], null, s18, v21, 0
	v_add_nc_u32_e32 v23, 0xdc, v27
	v_add3_u32 v14, v14, v18, v8
	s_delay_alu instid0(VALU_DEP_4) | instskip(SKIP_2) | instid1(VALU_DEP_4)
	v_mad_co_u64_u32 v[18:19], null, s19, v31, v[0:1]
	v_mad_co_u64_u32 v[16:17], null, s18, v22, 0
	v_mov_b32_e32 v10, v12
	v_lshlrev_b64_e32 v[12:13], 2, v[13:14]
	v_mov_b32_e32 v8, v15
	v_mad_co_u64_u32 v[19:20], null, s18, v23, 0
	s_delay_alu instid0(VALU_DEP_4)
	v_mad_co_u64_u32 v[14:15], null, s19, v21, v[10:11]
	v_add_nc_u32_e32 v21, 0x113, v27
	v_add_co_u32 v15, s0, s4, v12
	v_mov_b32_e32 v10, v18
	s_wait_alu 0xf1ff
	v_add_co_ci_u32_e64 v13, s0, s5, v13, s0
	v_mov_b32_e32 v0, v17
	v_lshlrev_b64_e32 v[7:8], 2, v[7:8]
	v_mov_b32_e32 v12, v14
	v_add_co_u32 v32, s0, v15, v5
	s_wait_alu 0xf1ff
	v_add_co_ci_u32_e64 v33, s0, v13, v6, s0
	v_lshlrev_b64_e32 v[5:6], 2, v[9:10]
	v_mad_co_u64_u32 v[9:10], null, s19, v22, v[0:1]
	v_add_co_u32 v7, s0, v32, v7
	v_lshlrev_b64_e32 v[10:11], 2, v[11:12]
	s_wait_alu 0xf1ff
	v_add_co_ci_u32_e64 v8, s0, v33, v8, s0
	v_add_co_u32 v5, s0, v32, v5
	s_wait_alu 0xf1ff
	v_add_co_ci_u32_e64 v6, s0, v33, v6, s0
	v_mov_b32_e32 v17, v9
	v_add_co_u32 v9, s0, v32, v10
	v_mov_b32_e32 v0, v20
	v_mad_co_u64_u32 v[12:13], null, s18, v21, 0
	s_wait_alu 0xf1ff
	v_add_co_ci_u32_e64 v10, s0, v33, v11, s0
	v_add_nc_u32_e32 v11, 0x14a, v27
	v_mad_co_u64_u32 v[14:15], null, s19, v23, v[0:1]
	v_lshlrev_b64_e32 v[15:16], 2, v[16:17]
	v_mov_b32_e32 v0, v13
	s_delay_alu instid0(VALU_DEP_4) | instskip(NEXT) | instid1(VALU_DEP_4)
	v_mad_co_u64_u32 v[17:18], null, s18, v11, 0
	v_mov_b32_e32 v20, v14
	s_delay_alu instid0(VALU_DEP_3) | instskip(SKIP_1) | instid1(VALU_DEP_4)
	v_mad_co_u64_u32 v[13:14], null, s19, v21, v[0:1]
	v_mad_co_u64_u32 v[21:22], null, s18, v25, 0
	v_mov_b32_e32 v0, v18
	s_delay_alu instid0(VALU_DEP_4)
	v_lshlrev_b64_e32 v[19:20], 2, v[19:20]
	v_add_co_u32 v14, s0, v32, v15
	s_wait_alu 0xf1ff
	v_add_co_ci_u32_e64 v15, s0, v33, v16, s0
	v_mad_co_u64_u32 v[23:24], null, s19, v11, v[0:1]
	v_mov_b32_e32 v0, v22
	v_lshlrev_b64_e32 v[11:12], 2, v[12:13]
	v_add_nc_u32_e32 v13, 0x1b8, v27
	v_add_co_u32 v19, s0, v32, v19
	s_wait_alu 0xf1ff
	v_add_co_ci_u32_e64 v20, s0, v33, v20, s0
	v_mov_b32_e32 v18, v23
	v_mad_co_u64_u32 v[22:23], null, s19, v25, v[0:1]
	v_mad_co_u64_u32 v[23:24], null, s18, v13, 0
	;; [unrolled: 1-line block ×3, first 2 shown]
	s_delay_alu instid0(VALU_DEP_4)
	v_lshlrev_b64_e32 v[16:17], 2, v[17:18]
	v_add_co_u32 v11, s0, v32, v11
	v_lshlrev_b64_e32 v[21:22], 2, v[21:22]
	v_mov_b32_e32 v0, v24
	s_wait_alu 0xf1ff
	v_add_co_ci_u32_e64 v12, s0, v33, v12, s0
	v_add_co_u32 v16, s0, v32, v16
	s_delay_alu instid0(VALU_DEP_3) | instskip(SKIP_4) | instid1(VALU_DEP_4)
	v_mad_co_u64_u32 v[28:29], null, s19, v13, v[0:1]
	v_dual_mov_b32 v0, v26 :: v_dual_add_nc_u32 v13, 0x226, v27
	s_wait_alu 0xf1ff
	v_add_co_ci_u32_e64 v17, s0, v33, v17, s0
	v_add_co_u32 v21, s0, v32, v21
	v_mov_b32_e32 v24, v28
	v_mad_co_u64_u32 v[28:29], null, s19, v30, v[0:1]
	v_mad_co_u64_u32 v[29:30], null, s18, v13, 0
	s_wait_alu 0xf1ff
	v_add_co_ci_u32_e64 v22, s0, v33, v22, s0
	s_clause 0x7
	global_load_b32 v34, v[7:8], off
	global_load_b32 v35, v[5:6], off
	;; [unrolled: 1-line block ×8, first 2 shown]
	v_add_nc_u32_e32 v14, 0x25d, v27
	v_add_nc_u32_e32 v16, 0x294, v27
	v_dual_mov_b32 v0, v30 :: v_dual_add_nc_u32 v21, 0x2cb, v27
	v_mov_b32_e32 v26, v28
	s_delay_alu instid0(VALU_DEP_4) | instskip(SKIP_1) | instid1(VALU_DEP_4)
	v_mad_co_u64_u32 v[7:8], null, s18, v14, 0
	v_lshlrev_b64_e32 v[5:6], 2, v[23:24]
	v_mad_co_u64_u32 v[9:10], null, s19, v13, v[0:1]
	v_mad_co_u64_u32 v[10:11], null, s18, v16, 0
	v_lshlrev_b64_e32 v[12:13], 2, v[25:26]
	v_mov_b32_e32 v0, v8
	v_add_co_u32 v5, s0, v32, v5
	v_mov_b32_e32 v30, v9
	s_wait_alu 0xf1ff
	v_add_co_ci_u32_e64 v6, s0, v33, v6, s0
	v_mad_co_u64_u32 v[8:9], null, s19, v14, v[0:1]
	v_dual_mov_b32 v0, v11 :: v_dual_add_nc_u32 v9, 0x302, v27
	v_mad_co_u64_u32 v[14:15], null, s18, v21, 0
	v_lshlrev_b64_e32 v[19:20], 2, v[29:30]
	s_delay_alu instid0(VALU_DEP_3) | instskip(NEXT) | instid1(VALU_DEP_4)
	v_mad_co_u64_u32 v[16:17], null, s19, v16, v[0:1]
	v_mad_co_u64_u32 v[17:18], null, s18, v9, 0
	v_add_co_u32 v12, s0, v32, v12
	v_mov_b32_e32 v0, v15
	v_lshlrev_b64_e32 v[7:8], 2, v[7:8]
	v_mov_b32_e32 v11, v16
	s_wait_alu 0xf1ff
	v_add_co_ci_u32_e64 v13, s0, v33, v13, s0
	v_mad_co_u64_u32 v[15:16], null, s19, v21, v[0:1]
	v_mov_b32_e32 v0, v18
	v_add_co_u32 v19, s0, v32, v19
	s_wait_alu 0xf1ff
	v_add_co_ci_u32_e64 v20, s0, v33, v20, s0
	s_delay_alu instid0(VALU_DEP_3)
	v_mad_co_u64_u32 v[21:22], null, s19, v9, v[0:1]
	v_lshlrev_b64_e32 v[9:10], 2, v[10:11]
	v_add_co_u32 v7, s0, v32, v7
	v_lshlrev_b64_e32 v[14:15], 2, v[14:15]
	s_wait_alu 0xf1ff
	v_add_co_ci_u32_e64 v8, s0, v33, v8, s0
	v_mov_b32_e32 v18, v21
	v_add_co_u32 v9, s0, v32, v9
	s_wait_alu 0xf1ff
	v_add_co_ci_u32_e64 v10, s0, v33, v10, s0
	s_delay_alu instid0(VALU_DEP_3) | instskip(SKIP_4) | instid1(VALU_DEP_4)
	v_lshlrev_b64_e32 v[16:17], 2, v[17:18]
	v_add_co_u32 v14, s0, v32, v14
	s_wait_alu 0xf1ff
	v_add_co_ci_u32_e64 v15, s0, v33, v15, s0
	v_lshl_add_u32 v11, v27, 2, 0
	v_add_co_u32 v16, s0, v32, v16
	s_wait_alu 0xf1ff
	v_add_co_ci_u32_e64 v17, s0, v33, v17, s0
	s_clause 0x6
	global_load_b32 v0, v[5:6], off
	global_load_b32 v5, v[12:13], off
	;; [unrolled: 1-line block ×7, first 2 shown]
	v_add_nc_u32_e32 v13, 0x400, v11
	v_add_nc_u32_e32 v12, 0x200, v11
	;; [unrolled: 1-line block ×3, first 2 shown]
	s_wait_loadcnt 0xd
	ds_store_2addr_b32 v11, v34, v35 offset1:55
	s_wait_loadcnt 0xb
	ds_store_2addr_b32 v11, v36, v37 offset0:110 offset1:165
	s_wait_loadcnt 0x9
	ds_store_2addr_b32 v12, v38, v39 offset0:92 offset1:147
	;; [unrolled: 2-line block ×6, first 2 shown]
	s_wait_loadcnt 0x0
	ds_store_b32 v11, v10 offset:3080
.LBB0_13:
	s_or_b32 exec_lo, exec_lo, s1
	v_lshl_add_u32 v0, v27, 2, 0
	s_load_b64 s[2:3], s[2:3], 0x0
	global_wb scope:SCOPE_SE
	s_wait_dscnt 0x0
	s_wait_kmcnt 0x0
	s_barrier_signal -1
	s_barrier_wait -1
	global_inv scope:SCOPE_SE
	ds_load_2addr_b32 v[5:6], v0 offset1:55
	ds_load_2addr_b32 v[19:20], v0 offset0:75 offset1:130
	v_add_nc_u32_e32 v28, 0xa00, v0
	ds_load_2addr_b32 v[23:24], v0 offset0:150 offset1:205
	v_add_nc_u32_e32 v30, 0x800, v0
	v_add_nc_u32_e32 v32, 0x200, v0
	;; [unrolled: 1-line block ×3, first 2 shown]
	ds_load_2addr_b32 v[7:8], v28 offset0:110 offset1:165
	ds_load_2addr_b32 v[9:10], v30 offset0:163 offset1:218
	;; [unrolled: 1-line block ×8, first 2 shown]
	v_mad_u32_u24 v33, v27, 40, v0
	s_mov_b32 s1, exec_lo
	global_wb scope:SCOPE_SE
	s_wait_dscnt 0x0
	s_barrier_signal -1
	s_barrier_wait -1
	global_inv scope:SCOPE_SE
	v_lshrrev_b32_e32 v36, 16, v5
	v_pk_add_f16 v34, v5, v19
	s_delay_alu instid0(VALU_DEP_1)
	v_pk_add_f16 v34, v34, v23
	v_pk_add_f16 v35, v19, v7 neg_lo:[0,1] neg_hi:[0,1]
	v_pk_add_f16 v19, v7, v19
	v_pk_add_f16 v37, v9, v23
	v_pk_add_f16 v23, v23, v9 neg_lo:[0,1] neg_hi:[0,1]
	v_pk_add_f16 v34, v34, v25
	v_lshrrev_b32_e32 v39, 16, v35
	v_lshrrev_b32_e32 v40, 16, v19
	v_pk_mul_f16 v38, 0xb853, v35 op_sel_hi:[0,1]
	v_lshrrev_b32_e32 v55, 16, v37
	v_pk_add_f16 v34, v34, v21
	v_mul_f16_e32 v44, 0xbbeb, v39
	v_mul_f16_e32 v43, 0x36a6, v40
	;; [unrolled: 1-line block ×3, first 2 shown]
	v_pk_fma_f16 v41, 0x3abb, v19, v38 op_sel:[0,0,1] op_sel_hi:[0,1,0]
	v_pk_add_f16 v34, v34, v17
	v_fmamk_f16 v49, v19, 0xb08e, v44
	v_fmamk_f16 v48, v35, 0x3b47, v43
	v_fmac_f16_e32 v43, 0xbb47, v35
	v_fmamk_f16 v50, v35, 0x3beb, v45
	v_pk_add_f16 v34, v34, v15
	v_pk_fma_f16 v38, 0x3abb, v19, v38 op_sel:[0,0,1] op_sel_hi:[0,1,0] neg_lo:[0,0,1] neg_hi:[0,0,1]
	v_mul_f16_e32 v42, 0xbb47, v39
	v_mul_f16_e32 v40, 0xb93d, v40
	v_fmac_f16_e32 v45, 0xbbeb, v35
	v_pk_add_f16 v34, v34, v13
	v_bfi_b32 v46, 0xffff, v41, v38
	v_fmamk_f16 v47, v19, 0x36a6, v42
	v_fma_f16 v42, v19, 0x36a6, -v42
	v_fmamk_f16 v52, v35, 0x3a0c, v40
	v_pk_add_f16 v34, v34, v11
	v_pk_add_f16 v46, v5, v46
	v_add_f16_e32 v47, v5, v47
	v_fmac_f16_e32 v40, 0xba0c, v35
	v_mul_f16_e32 v58, 0xb93d, v55
	v_pk_add_f16 v9, v34, v9
	v_add_f16_e32 v34, v36, v43
	v_add_f16_e32 v43, v5, v49
	;; [unrolled: 1-line block ×3, first 2 shown]
	v_lshrrev_b32_e32 v50, 16, v23
	v_pk_add_f16 v7, v9, v7
	v_pk_mul_f16 v9, 0xbb47, v23 op_sel_hi:[0,1]
	v_fma_f16 v44, v19, 0xb08e, -v44
	v_add_f16_e32 v48, v36, v48
	v_mul_f16_e32 v54, 0xba0c, v50
	v_add_f16_e32 v42, v5, v42
	v_pk_fma_f16 v53, 0x36a6, v37, v9 op_sel:[0,0,1] op_sel_hi:[0,1,0]
	v_pk_fma_f16 v9, 0x36a6, v37, v9 op_sel:[0,0,1] op_sel_hi:[0,1,0] neg_lo:[0,0,1] neg_hi:[0,0,1]
	v_add_f16_e32 v45, v36, v45
	v_fmamk_f16 v57, v37, 0xb93d, v54
	v_add_f16_e32 v52, v36, v52
	v_add_f16_e32 v36, v36, v40
	v_bfi_b32 v56, 0xffff, v53, v9
	v_fma_f16 v54, v37, 0xb93d, -v54
	v_mul_f16_e32 v39, 0xba0c, v39
	v_add_f16_e32 v44, v5, v44
	v_bfi_b32 v38, 0xffff, v38, v41
	v_pk_add_f16 v40, v56, v46
	v_add_f16_e32 v46, v57, v47
	v_fmamk_f16 v47, v23, 0x3a0c, v58
	v_mul_f16_e32 v56, 0x3482, v50
	v_mul_f16_e32 v57, 0xbbad, v55
	v_add_f16_e32 v42, v54, v42
	v_fmamk_f16 v51, v19, 0xb93d, v39
	v_add_f16_e32 v47, v47, v48
	v_fmamk_f16 v48, v37, 0xbbad, v56
	v_fmamk_f16 v59, v23, 0xb482, v57
	v_fma_f16 v54, v37, 0xbbad, -v56
	v_fmac_f16_e32 v58, 0xba0c, v23
	v_add_f16_e32 v51, v5, v51
	v_add_f16_e32 v43, v48, v43
	;; [unrolled: 1-line block ×3, first 2 shown]
	v_mul_f16_e32 v49, 0x3beb, v50
	v_add_f16_e32 v44, v54, v44
	v_pk_add_f16 v54, v25, v11 neg_lo:[0,1] neg_hi:[0,1]
	v_pk_add_f16 v11, v11, v25
	v_fma_f16 v39, v19, 0xb93d, -v39
	v_add_f16_e32 v34, v58, v34
	v_mul_f16_e32 v50, 0xb08e, v55
	v_fmac_f16_e32 v57, 0x3482, v23
	v_fmamk_f16 v55, v37, 0xb08e, v49
	v_pk_mul_f16 v25, 0xbbeb, v54 op_sel_hi:[0,1]
	v_lshrrev_b32_e32 v58, 16, v11
	v_add_f16_e32 v39, v5, v39
	v_fmamk_f16 v56, v23, 0xbbeb, v50
	v_add_f16_e32 v45, v57, v45
	v_lshrrev_b32_e32 v57, 16, v54
	v_add_f16_e32 v51, v55, v51
	v_pk_fma_f16 v55, 0xb08e, v11, v25 op_sel:[0,0,1] op_sel_hi:[0,1,0]
	v_pk_fma_f16 v25, 0xb08e, v11, v25 op_sel:[0,0,1] op_sel_hi:[0,1,0] neg_lo:[0,0,1] neg_hi:[0,0,1]
	v_fma_f16 v49, v37, 0xb08e, -v49
	v_fmac_f16_e32 v50, 0x3beb, v23
	v_mul_f16_e32 v61, 0xbbad, v58
	v_add_f16_e32 v52, v56, v52
	v_mul_f16_e32 v56, 0x3482, v57
	v_bfi_b32 v59, 0xffff, v55, v25
	v_add_f16_e32 v39, v49, v39
	v_add_f16_e32 v36, v50, v36
	v_fmamk_f16 v49, v54, 0xb482, v61
	v_mul_f16_e32 v50, 0x3b47, v57
	v_fmamk_f16 v60, v11, 0xbbad, v56
	v_pk_add_f16 v40, v59, v40
	v_mul_f16_e32 v59, 0x36a6, v58
	v_add_f16_e32 v47, v49, v47
	v_fmamk_f16 v49, v11, 0x36a6, v50
	v_fma_f16 v50, v11, 0x36a6, -v50
	v_add_f16_e32 v46, v60, v46
	v_fma_f16 v56, v11, 0xbbad, -v56
	v_fmamk_f16 v60, v54, 0xbb47, v59
	v_add_f16_e32 v43, v49, v43
	v_mul_f16_e32 v49, 0xb853, v57
	v_add_f16_e32 v44, v50, v44
	v_pk_add_f16 v50, v21, v13 neg_lo:[0,1] neg_hi:[0,1]
	v_pk_add_f16 v13, v13, v21
	v_add_f16_e32 v42, v56, v42
	v_add_f16_e32 v48, v60, v48
	v_mul_f16_e32 v56, 0x3abb, v58
	v_fmac_f16_e32 v59, 0x3b47, v54
	v_fmamk_f16 v57, v11, 0x3abb, v49
	v_pk_mul_f16 v21, 0xba0c, v50 op_sel_hi:[0,1]
	v_lshrrev_b32_e32 v60, 16, v13
	v_fmac_f16_e32 v61, 0x3482, v54
	v_fmamk_f16 v58, v54, 0x3853, v56
	v_add_f16_e32 v45, v59, v45
	v_lshrrev_b32_e32 v59, 16, v50
	v_add_f16_e32 v51, v57, v51
	v_pk_fma_f16 v57, 0xb93d, v13, v21 op_sel:[0,0,1] op_sel_hi:[0,1,0]
	v_pk_fma_f16 v21, 0xb93d, v13, v21 op_sel:[0,0,1] op_sel_hi:[0,1,0] neg_lo:[0,0,1] neg_hi:[0,0,1]
	v_fma_f16 v49, v11, 0x3abb, -v49
	v_fmac_f16_e32 v56, 0xb853, v54
	v_mul_f16_e32 v63, 0xb08e, v60
	v_add_f16_e32 v34, v61, v34
	v_add_f16_e32 v52, v58, v52
	v_mul_f16_e32 v58, 0x3beb, v59
	v_bfi_b32 v61, 0xffff, v57, v21
	v_add_f16_e32 v39, v49, v39
	v_add_f16_e32 v36, v56, v36
	v_fmamk_f16 v49, v50, 0xbbeb, v63
	v_mul_f16_e32 v56, 0xb853, v59
	v_fmamk_f16 v62, v13, 0xb08e, v58
	v_pk_add_f16 v40, v61, v40
	v_mul_f16_e32 v61, 0x3abb, v60
	v_fma_f16 v58, v13, 0xb08e, -v58
	v_add_f16_e32 v47, v49, v47
	v_fmamk_f16 v49, v13, 0x3abb, v56
	v_fma_f16 v56, v13, 0x3abb, -v56
	v_add_f16_e32 v46, v62, v46
	v_fmamk_f16 v62, v50, 0x3853, v61
	v_add_f16_e32 v42, v58, v42
	v_add_f16_e32 v43, v49, v43
	v_mul_f16_e32 v49, 0xb482, v59
	v_mul_f16_e32 v58, 0xbbad, v60
	v_add_f16_e32 v44, v56, v44
	v_pk_add_f16 v56, v17, v15 neg_lo:[0,1] neg_hi:[0,1]
	v_fmac_f16_e32 v61, 0xb853, v50
	v_fmamk_f16 v59, v13, 0xbbad, v49
	v_fmamk_f16 v60, v50, 0x3482, v58
	v_pk_add_f16 v15, v15, v17
	v_pk_mul_f16 v17, 0xb482, v56 op_sel_hi:[0,1]
	v_add_f16_e32 v45, v61, v45
	v_lshrrev_b32_e32 v61, 16, v56
	v_fmac_f16_e32 v63, 0x3beb, v50
	v_add_f16_e32 v48, v62, v48
	v_add_f16_e32 v51, v59, v51
	;; [unrolled: 1-line block ×3, first 2 shown]
	v_pk_fma_f16 v59, 0xbbad, v15, v17 op_sel:[0,0,1] op_sel_hi:[0,1,0]
	v_pk_fma_f16 v17, 0xbbad, v15, v17 op_sel:[0,0,1] op_sel_hi:[0,1,0] neg_lo:[0,0,1] neg_hi:[0,0,1]
	v_mul_f16_e32 v60, 0x3853, v61
	v_fma_f16 v49, v13, 0xbbad, -v49
	v_lshrrev_b32_e32 v62, 16, v15
	v_add_f16_e32 v34, v63, v34
	v_fmac_f16_e32 v58, 0xb482, v50
	v_bfi_b32 v63, 0xffff, v59, v17
	v_fmamk_f16 v64, v15, 0x3abb, v60
	v_add_f16_e32 v39, v49, v39
	v_mul_f16_e32 v49, 0x3abb, v62
	v_add_f16_e32 v36, v58, v36
	v_pk_add_f16 v40, v63, v40
	v_add_f16_e32 v46, v64, v46
	v_mul_f16_e32 v58, 0xba0c, v61
	v_fmamk_f16 v63, v56, 0xb853, v49
	v_fma_f16 v60, v15, 0x3abb, -v60
	v_fmac_f16_e32 v49, 0x3853, v56
	v_mul_f16_e32 v64, 0xb93d, v62
	v_fmamk_f16 v65, v15, 0xb93d, v58
	v_fma_f16 v58, v15, 0xb93d, -v58
	v_add_f16_e32 v42, v60, v42
	v_add_f16_e32 v34, v49, v34
	v_fmamk_f16 v49, v56, 0x3a0c, v64
	v_mul_f16_e32 v60, 0x3b47, v61
	v_add_f16_e32 v44, v58, v44
	v_pk_mul_f16 v19, 0xbbad, v19 op_sel_hi:[0,1]
	v_pk_mul_f16 v37, 0x3abb, v37 op_sel_hi:[0,1]
	v_add_f16_e32 v48, v49, v48
	v_mul_f16_e32 v49, 0x36a6, v62
	v_fmamk_f16 v58, v15, 0x36a6, v60
	v_add_f16_e32 v47, v63, v47
	v_add_f16_e32 v43, v65, v43
	v_pk_mul_f16 v11, 0xb93d, v11 op_sel_hi:[0,1]
	v_fmamk_f16 v61, v56, 0xbb47, v49
	v_fmac_f16_e32 v49, 0x3b47, v56
	v_add_f16_e32 v51, v58, v51
	v_pk_fma_f16 v58, 0xb482, v35, v19 op_sel:[0,0,1] op_sel_hi:[0,1,0]
	v_pk_fma_f16 v19, 0xb482, v35, v19 op_sel:[0,0,1] op_sel_hi:[0,1,0] neg_lo:[0,1,0] neg_hi:[0,1,0]
	v_pk_fma_f16 v35, 0x3853, v23, v37 op_sel:[0,0,1] op_sel_hi:[0,1,0]
	v_add_f16_e32 v36, v49, v36
	v_pack_b32_f16 v43, v43, v48
	v_alignbit_b32 v49, s0, v58, 16
	v_pack_b32_f16 v46, v46, v47
	v_alignbit_b32 v48, s0, v5, 16
	v_pk_add_f16 v19, v5, v19 op_sel:[1,0] op_sel_hi:[0,1]
	v_pk_fma_f16 v23, 0x3853, v23, v37 op_sel:[0,0,1] op_sel_hi:[0,1,0] neg_lo:[0,1,0] neg_hi:[0,1,0]
	v_pk_add_f16 v47, v5, v49
	v_alignbit_b32 v49, s0, v35, 16
	v_pk_fma_f16 v37, 0xba0c, v54, v11 op_sel:[0,0,1] op_sel_hi:[0,1,0]
	v_pk_mul_f16 v13, 0x36a6, v13 op_sel_hi:[0,1]
	v_pk_add_f16 v48, v48, v58
	v_pk_add_f16 v19, v23, v19
	;; [unrolled: 1-line block ×3, first 2 shown]
	v_alignbit_b32 v23, s0, v37, 16
	v_pk_fma_f16 v11, 0xba0c, v54, v11 op_sel:[0,0,1] op_sel_hi:[0,1,0] neg_lo:[0,1,0] neg_hi:[0,1,0]
	v_pk_fma_f16 v49, 0x3b47, v50, v13 op_sel:[0,0,1] op_sel_hi:[0,1,0]
	v_fma_f16 v60, v15, 0x36a6, -v60
	v_pk_add_f16 v35, v35, v48
	v_pk_add_f16 v23, v23, v47
	;; [unrolled: 1-line block ×3, first 2 shown]
	v_alignbit_b32 v19, s0, v49, 16
	v_pk_mul_f16 v15, 0xb08e, v15 op_sel_hi:[0,1]
	v_pk_add_f16 v5, v5, v38
	v_bfi_b32 v9, 0xffff, v9, v53
	v_pk_add_f16 v35, v37, v35
	v_pk_fma_f16 v13, 0x3b47, v50, v13 op_sel:[0,0,1] op_sel_hi:[0,1,0] neg_lo:[0,1,0] neg_hi:[0,1,0]
	v_pk_add_f16 v19, v19, v23
	v_pk_fma_f16 v23, 0xbbeb, v56, v15 op_sel:[0,0,1] op_sel_hi:[0,1,0]
	v_pk_add_f16 v5, v9, v5
	v_bfi_b32 v9, 0xffff, v25, v55
	v_pk_add_f16 v11, v13, v11
	v_pk_fma_f16 v13, 0xbbeb, v56, v15 op_sel:[0,0,1] op_sel_hi:[0,1,0] neg_lo:[0,1,0] neg_hi:[0,1,0]
	v_pk_add_f16 v15, v49, v35
	v_alignbit_b32 v25, s0, v23, 16
	v_fmac_f16_e32 v64, 0xba0c, v56
	v_pk_add_f16 v5, v9, v5
	v_bfi_b32 v9, 0xffff, v21, v57
	v_add_f16_e32 v52, v61, v52
	v_pk_add_f16 v11, v13, v11
	v_pk_add_f16 v13, v23, v15
	;; [unrolled: 1-line block ×3, first 2 shown]
	v_add_f16_e32 v45, v64, v45
	v_add_f16_e32 v39, v60, v39
	v_pk_add_f16 v5, v9, v5
	v_bfi_b32 v9, 0xffff, v17, v59
	v_pack_b32_f16 v19, v51, v52
	v_alignbit_b32 v13, v13, v11, 16
	v_pack_b32_f16 v11, v15, v11
	v_pack_b32_f16 v15, v44, v45
	;; [unrolled: 1-line block ×3, first 2 shown]
	v_pk_add_f16 v5, v9, v5
	v_pack_b32_f16 v9, v42, v34
	ds_store_2addr_b32 v33, v7, v40 offset1:1
	ds_store_2addr_b32 v33, v46, v43 offset0:2 offset1:3
	ds_store_b32 v33, v19 offset:16
	ds_store_2addr_b32 v33, v11, v13 offset0:5 offset1:6
	ds_store_2addr_b32 v33, v17, v15 offset0:7 offset1:8
	;; [unrolled: 1-line block ×3, first 2 shown]
	v_cmpx_gt_u32_e32 20, v27
	s_cbranch_execz .LBB0_15
; %bb.14:
	v_pk_add_f16 v5, v6, v20
	v_pk_add_f16 v9, v8, v20
	;; [unrolled: 1-line block ×3, first 2 shown]
	v_pk_add_f16 v11, v20, v8 neg_lo:[0,1] neg_hi:[0,1]
	v_pk_add_f16 v17, v12, v26
	v_pk_add_f16 v5, v5, v24
	v_lshrrev_b32_e32 v25, 16, v9
	v_pk_add_f16 v19, v26, v12 neg_lo:[0,1] neg_hi:[0,1]
	v_pk_add_f16 v15, v24, v10 neg_lo:[0,1] neg_hi:[0,1]
	v_pk_add_f16 v20, v14, v22
	v_pk_add_f16 v5, v5, v26
	v_lshrrev_b32_e32 v26, 16, v13
	v_mul_f16_e32 v35, 0xb93d, v25
	v_pk_add_f16 v21, v22, v14 neg_lo:[0,1] neg_hi:[0,1]
	v_lshrrev_b32_e32 v34, 16, v17
	v_pk_add_f16 v5, v5, v22
	v_lshrrev_b32_e32 v22, 16, v6
	v_mul_f16_e32 v37, 0xb08e, v26
	v_fmamk_f16 v38, v11, 0x3a0c, v35
	v_pk_add_f16 v23, v16, v18
	v_pk_add_f16 v5, v5, v18
	v_pk_add_f16 v24, v18, v16 neg_lo:[0,1] neg_hi:[0,1]
	v_lshrrev_b32_e32 v18, 16, v20
	v_mul_f16_e32 v39, 0x3abb, v34
	v_fmamk_f16 v40, v15, 0xbbeb, v37
	v_pk_add_f16 v5, v5, v16
	v_add_f16_e32 v38, v22, v38
	v_lshrrev_b32_e32 v36, 16, v23
	v_lshrrev_b32_e32 v16, 16, v11
	v_mul_f16_e32 v41, 0xbbad, v18
	v_pk_add_f16 v5, v5, v14
	v_fmamk_f16 v42, v19, 0x3853, v39
	v_add_f16_e32 v38, v40, v38
	v_lshrrev_b32_e32 v14, 16, v15
	v_mul_f16_e32 v40, 0xba0c, v16
	v_pk_add_f16 v5, v5, v12
	v_fmamk_f16 v43, v21, 0x3482, v41
	v_add_f16_e32 v38, v42, v38
	v_lshrrev_b32_e32 v12, 16, v19
	v_fmamk_f16 v42, v9, 0xb93d, v40
	v_pk_add_f16 v5, v5, v10
	v_mul_f16_e32 v10, 0x36a6, v36
	v_mul_f16_e32 v44, 0x3beb, v14
	v_add_f16_e32 v38, v43, v38
	v_add_f16_e32 v42, v6, v42
	v_pk_add_f16 v5, v5, v8
	v_fmamk_f16 v8, v24, 0xbb47, v10
	v_fmamk_f16 v43, v13, 0xb08e, v44
	v_mul_f16_e32 v45, 0xb853, v12
	v_lshrrev_b32_e32 v46, 16, v21
	v_lshrrev_b32_e32 v48, 16, v24
	v_add_f16_e32 v8, v8, v38
	v_mul_f16_e32 v38, 0xb08e, v25
	v_add_f16_e32 v42, v43, v42
	v_fmamk_f16 v43, v17, 0x3abb, v45
	v_mul_f16_e32 v47, 0xb482, v46
	v_mul_f16_e32 v50, 0xbbad, v26
	v_fmamk_f16 v49, v11, 0x3beb, v38
	v_mul_f16_e32 v51, 0x3b47, v48
	v_add_f16_e32 v42, v43, v42
	v_fmamk_f16 v43, v20, 0xbbad, v47
	v_fmamk_f16 v52, v15, 0xb482, v50
	v_add_f16_e32 v49, v22, v49
	v_mul_f16_e32 v53, 0x36a6, v34
	v_mul_f16_e32 v54, 0xbbeb, v16
	v_add_f16_e32 v42, v43, v42
	v_fmamk_f16 v43, v23, 0x36a6, v51
	v_add_f16_e32 v49, v52, v49
	v_fmamk_f16 v52, v19, 0xbb47, v53
	v_mul_f16_e32 v55, 0x3abb, v18
	v_fmac_f16_e32 v35, 0xba0c, v11
	v_add_f16_e32 v42, v43, v42
	v_fmamk_f16 v43, v9, 0xb08e, v54
	v_mul_f16_e32 v56, 0x3482, v14
	v_add_f16_e32 v49, v52, v49
	v_fmamk_f16 v52, v21, 0x3853, v55
	v_mul_f16_e32 v57, 0xb93d, v36
	v_add_f16_e32 v35, v22, v35
	v_fmac_f16_e32 v37, 0x3beb, v15
	v_add_f16_e32 v43, v6, v43
	v_fmamk_f16 v58, v13, 0xbbad, v56
	v_mul_f16_e32 v59, 0x3b47, v12
	v_add_f16_e32 v49, v52, v49
	v_fmamk_f16 v52, v24, 0x3a0c, v57
	v_mul_f16_e32 v25, 0x36a6, v25
	v_fma_f16 v40, v9, 0xb93d, -v40
	v_add_f16_e32 v35, v37, v35
	v_fmac_f16_e32 v39, 0xb853, v19
	v_add_f16_e32 v43, v58, v43
	v_fmamk_f16 v58, v17, 0x36a6, v59
	v_mul_f16_e32 v60, 0xb853, v46
	v_add_f16_e32 v49, v52, v49
	v_fmamk_f16 v52, v11, 0x3b47, v25
	v_mul_f16_e32 v26, 0xb93d, v26
	v_add_f16_e32 v40, v6, v40
	v_fma_f16 v44, v13, 0xb08e, -v44
	v_add_f16_e32 v35, v39, v35
	v_fmac_f16_e32 v41, 0xb482, v21
	v_add_f16_e32 v43, v58, v43
	v_fmamk_f16 v58, v20, 0x3abb, v60
	v_mul_f16_e32 v61, 0xba0c, v48
	v_add_f16_e32 v52, v22, v52
	v_fmamk_f16 v62, v15, 0x3a0c, v26
	v_mul_f16_e32 v34, 0xbbad, v34
	v_add_f16_e32 v39, v44, v40
	v_fma_f16 v40, v17, 0x3abb, -v45
	v_add_f16_e32 v35, v41, v35
	v_fmac_f16_e32 v10, 0x3b47, v24
	v_add_f16_e32 v43, v58, v43
	v_fmamk_f16 v58, v23, 0xb93d, v61
	v_mul_f16_e32 v16, 0xbb47, v16
	v_add_f16_e32 v52, v62, v52
	v_fmamk_f16 v62, v19, 0xb482, v34
	v_mul_f16_e32 v18, 0xb08e, v18
	v_fmac_f16_e32 v38, 0xbbeb, v11
	v_add_f16_e32 v39, v40, v39
	v_fma_f16 v40, v20, 0xbbad, -v47
	v_add_f16_e32 v10, v10, v35
	v_fma_f16 v35, v9, 0xb08e, -v54
	v_fmac_f16_e32 v25, 0xbb47, v11
	v_add_f16_e32 v43, v58, v43
	v_fmamk_f16 v58, v9, 0x36a6, v16
	v_mul_f16_e32 v14, 0xba0c, v14
	v_add_f16_e32 v52, v62, v52
	v_fmamk_f16 v62, v21, 0xbbeb, v18
	v_add_f16_e32 v38, v22, v38
	v_add_f16_e32 v39, v40, v39
	v_fma_f16 v40, v23, 0x36a6, -v51
	v_add_f16_e32 v35, v6, v35
	v_fma_f16 v41, v13, 0xbbad, -v56
	v_add_f16_e32 v22, v22, v25
	v_fmac_f16_e32 v26, 0xba0c, v15
	v_add_f16_e32 v58, v6, v58
	v_fmamk_f16 v63, v13, 0xb93d, v14
	v_mul_f16_e32 v12, 0x3482, v12
	v_add_f16_e32 v52, v62, v52
	v_pk_mul_f16 v62, 0xb853, v11 op_sel_hi:[0,1]
	v_add_f16_e32 v39, v40, v39
	v_add_f16_e32 v35, v41, v35
	v_fma_f16 v40, v17, 0x36a6, -v59
	v_fma_f16 v16, v9, 0x36a6, -v16
	v_add_f16_e32 v22, v26, v22
	v_fmac_f16_e32 v34, 0x3482, v19
	v_mul_f16_e32 v36, 0x3abb, v36
	v_add_f16_e32 v58, v63, v58
	v_fmamk_f16 v63, v17, 0xbbad, v12
	v_mul_f16_e32 v46, 0x3beb, v46
	v_pk_fma_f16 v65, 0x3abb, v9, v62 op_sel:[0,0,1] op_sel_hi:[0,1,0]
	v_pk_fma_f16 v62, 0x3abb, v9, v62 op_sel:[0,0,1] op_sel_hi:[0,1,0] neg_lo:[0,0,1] neg_hi:[0,0,1]
	v_pk_mul_f16 v66, 0xbb47, v15 op_sel_hi:[0,1]
	v_add_f16_e32 v25, v40, v35
	v_fma_f16 v35, v20, 0x3abb, -v60
	v_add_f16_e32 v16, v6, v16
	v_fma_f16 v14, v13, 0xb93d, -v14
	v_add_f16_e32 v22, v34, v22
	v_fmac_f16_e32 v18, 0x3beb, v21
	v_pk_mul_f16 v9, 0xbbad, v9 op_sel_hi:[0,1]
	v_fmamk_f16 v64, v24, 0xb853, v36
	v_add_f16_e32 v58, v63, v58
	v_fmamk_f16 v63, v20, 0xb08e, v46
	v_mul_f16_e32 v48, 0x3853, v48
	v_bfi_b32 v67, 0xffff, v65, v62
	v_pk_fma_f16 v68, 0x36a6, v13, v66 op_sel:[0,0,1] op_sel_hi:[0,1,0]
	v_pk_fma_f16 v66, 0x36a6, v13, v66 op_sel:[0,0,1] op_sel_hi:[0,1,0] neg_lo:[0,0,1] neg_hi:[0,0,1]
	v_pk_mul_f16 v69, 0xbbeb, v19 op_sel_hi:[0,1]
	v_add_f16_e32 v25, v35, v25
	v_fma_f16 v26, v23, 0xb93d, -v61
	v_add_f16_e32 v14, v14, v16
	v_fma_f16 v12, v17, 0xbbad, -v12
	v_add_f16_e32 v18, v18, v22
	v_pk_fma_f16 v22, 0xb482, v11, v9 op_sel:[0,0,1] op_sel_hi:[0,1,0]
	v_pk_mul_f16 v13, 0x3abb, v13 op_sel_hi:[0,1]
	v_add_f16_e32 v58, v63, v58
	v_fmamk_f16 v63, v23, 0x3abb, v48
	v_pk_add_f16 v67, v6, v67
	v_bfi_b32 v70, 0xffff, v68, v66
	v_pk_fma_f16 v71, 0xb08e, v17, v69 op_sel:[0,0,1] op_sel_hi:[0,1,0]
	v_pk_fma_f16 v69, 0xb08e, v17, v69 op_sel:[0,0,1] op_sel_hi:[0,1,0] neg_lo:[0,0,1] neg_hi:[0,0,1]
	v_add_f16_e32 v52, v64, v52
	v_pk_mul_f16 v64, 0xba0c, v21 op_sel_hi:[0,1]
	v_add_f16_e32 v16, v26, v25
	v_add_f16_e32 v12, v12, v14
	v_fma_f16 v14, v20, 0xb08e, -v46
	v_alignbit_b32 v25, s0, v22, 16
	v_pk_fma_f16 v26, 0x3853, v15, v13 op_sel:[0,0,1] op_sel_hi:[0,1,0]
	v_pk_mul_f16 v17, 0xb93d, v17 op_sel_hi:[0,1]
	v_add_f16_e32 v58, v63, v58
	v_pk_add_f16 v63, v70, v67
	v_pk_fma_f16 v70, 0xb93d, v20, v64 op_sel:[0,0,1] op_sel_hi:[0,1,0]
	v_pk_fma_f16 v64, 0xb93d, v20, v64 op_sel:[0,0,1] op_sel_hi:[0,1,0] neg_lo:[0,0,1] neg_hi:[0,0,1]
	v_add_f16_e32 v12, v14, v12
	v_fma_f16 v14, v23, 0x3abb, -v48
	v_pk_add_f16 v25, v6, v25
	v_alignbit_b32 v34, s0, v26, 16
	v_pk_fma_f16 v35, 0xba0c, v19, v17 op_sel:[0,0,1] op_sel_hi:[0,1,0]
	v_pk_mul_f16 v20, 0x36a6, v20 op_sel_hi:[0,1]
	v_fmac_f16_e32 v36, 0x3853, v24
	v_add_f16_e32 v12, v14, v12
	v_pk_add_f16 v14, v34, v25
	v_alignbit_b32 v25, s0, v35, 16
	v_pk_fma_f16 v34, 0x3b47, v21, v20 op_sel:[0,0,1] op_sel_hi:[0,1,0]
	v_add_f16_e32 v18, v36, v18
	v_alignbit_b32 v36, s0, v6, 16
	v_pk_fma_f16 v9, 0xb482, v11, v9 op_sel:[0,0,1] op_sel_hi:[0,1,0] neg_lo:[0,1,0] neg_hi:[0,1,0]
	v_pk_add_f16 v14, v25, v14
	v_alignbit_b32 v25, s0, v34, 16
	v_pk_fma_f16 v13, 0x3853, v15, v13 op_sel:[0,0,1] op_sel_hi:[0,1,0] neg_lo:[0,1,0] neg_hi:[0,1,0]
	v_pk_add_f16 v22, v36, v22
	v_pk_add_f16 v9, v6, v9 op_sel:[1,0] op_sel_hi:[0,1]
	v_fmac_f16_e32 v50, 0x3482, v15
	v_pk_add_f16 v14, v25, v14
	v_bfi_b32 v25, 0xffff, v62, v65
	v_pk_add_f16 v22, v26, v22
	v_pk_add_f16 v9, v13, v9
	v_pk_fma_f16 v13, 0xba0c, v19, v17 op_sel:[0,0,1] op_sel_hi:[0,1,0] neg_lo:[0,1,0] neg_hi:[0,1,0]
	v_pk_mul_f16 v17, 0xb08e, v23 op_sel_hi:[0,1]
	v_add_f16_e32 v38, v50, v38
	v_fmac_f16_e32 v53, 0x3b47, v19
	v_bfi_b32 v67, 0xffff, v71, v69
	v_pk_mul_f16 v72, 0xb482, v24 op_sel_hi:[0,1]
	v_pk_add_f16 v6, v6, v25
	v_bfi_b32 v19, 0xffff, v66, v68
	v_pk_add_f16 v22, v35, v22
	v_pk_add_f16 v9, v13, v9
	v_pk_fma_f16 v13, 0x3b47, v21, v20 op_sel:[0,0,1] op_sel_hi:[0,1,0] neg_lo:[0,1,0] neg_hi:[0,1,0]
	v_pk_fma_f16 v20, 0xbbeb, v24, v17 op_sel:[0,0,1] op_sel_hi:[0,1,0]
	v_add_f16_e32 v38, v53, v38
	v_fmac_f16_e32 v55, 0xb853, v21
	v_pk_add_f16 v63, v67, v63
	v_bfi_b32 v67, 0xffff, v70, v64
	v_pk_fma_f16 v73, 0xbbad, v23, v72 op_sel:[0,0,1] op_sel_hi:[0,1,0]
	v_pk_fma_f16 v72, 0xbbad, v23, v72 op_sel:[0,0,1] op_sel_hi:[0,1,0] neg_lo:[0,0,1] neg_hi:[0,0,1]
	v_pk_add_f16 v6, v19, v6
	v_bfi_b32 v19, 0xffff, v69, v71
	v_pk_add_f16 v21, v34, v22
	v_pk_add_f16 v9, v13, v9
	v_pk_fma_f16 v13, 0xbbeb, v24, v17 op_sel:[0,0,1] op_sel_hi:[0,1,0] neg_lo:[0,1,0] neg_hi:[0,1,0]
	v_alignbit_b32 v17, s0, v20, 16
	v_add_f16_e32 v38, v55, v38
	v_fmac_f16_e32 v57, 0xba0c, v24
	v_pk_add_f16 v37, v67, v63
	v_bfi_b32 v63, 0xffff, v73, v72
	v_pk_add_f16 v6, v19, v6
	v_bfi_b32 v19, 0xffff, v64, v70
	v_pk_add_f16 v20, v20, v21
	v_pk_add_f16 v9, v13, v9
	;; [unrolled: 1-line block ×3, first 2 shown]
	v_add_f16_e32 v38, v57, v38
	v_mad_i32_i24 v7, v31, 44, 0
	v_pk_add_f16 v37, v63, v37
	v_pk_add_f16 v6, v19, v6
	v_bfi_b32 v14, 0xffff, v72, v73
	v_pack_b32_f16 v11, v43, v49
	v_pack_b32_f16 v15, v58, v52
	;; [unrolled: 1-line block ×3, first 2 shown]
	v_alignbit_b32 v17, v20, v9, 16
	v_pack_b32_f16 v9, v13, v9
	v_pack_b32_f16 v13, v16, v38
	;; [unrolled: 1-line block ×3, first 2 shown]
	v_pk_add_f16 v6, v14, v6
	v_pack_b32_f16 v12, v12, v18
	ds_store_2addr_b32 v7, v5, v37 offset1:1
	ds_store_2addr_b32 v7, v15, v11 offset0:2 offset1:3
	ds_store_b32 v7, v8 offset:16
	ds_store_2addr_b32 v7, v9, v17 offset0:5 offset1:6
	ds_store_2addr_b32 v7, v10, v13 offset0:7 offset1:8
	;; [unrolled: 1-line block ×3, first 2 shown]
.LBB0_15:
	s_wait_alu 0xfffe
	s_or_b32 exec_lo, exec_lo, s1
	v_and_b32_e32 v5, 0xff, v27
	v_and_b32_e32 v6, 0xff, v31
	v_add_nc_u32_e32 v11, 0x6e, v27
	global_wb scope:SCOPE_SE
	s_wait_dscnt 0x0
	s_barrier_signal -1
	v_mul_lo_u16 v5, 0x75, v5
	v_mul_lo_u16 v6, 0x75, v6
	v_and_b32_e32 v13, 0xff, v11
	s_barrier_wait -1
	global_inv scope:SCOPE_SE
	v_lshrrev_b16 v5, 8, v5
	v_lshrrev_b16 v6, 8, v6
	v_mul_lo_u16 v9, 0x75, v13
	v_add_nc_u32_e32 v12, 0x600, v0
	v_mad_i32_i24 v10, 0xffffffd8, v27, v33
	v_sub_nc_u16 v7, v27, v5
	v_sub_nc_u16 v8, v31, v6
	v_mul_lo_u16 v13, 0x95, v13
	s_delay_alu instid0(VALU_DEP_3) | instskip(NEXT) | instid1(VALU_DEP_3)
	v_lshrrev_b16 v7, 1, v7
	v_lshrrev_b16 v8, 1, v8
	s_delay_alu instid0(VALU_DEP_3) | instskip(NEXT) | instid1(VALU_DEP_3)
	v_lshrrev_b16 v13, 13, v13
	v_and_b32_e32 v7, 0x7f, v7
	s_delay_alu instid0(VALU_DEP_3) | instskip(NEXT) | instid1(VALU_DEP_3)
	v_and_b32_e32 v8, 0x7f, v8
	v_mul_lo_u16 v13, v13, 55
	s_delay_alu instid0(VALU_DEP_3) | instskip(SKIP_1) | instid1(VALU_DEP_4)
	v_add_nc_u16 v5, v7, v5
	v_lshrrev_b16 v7, 8, v9
	v_add_nc_u16 v6, v8, v6
	v_lshl_add_u32 v9, v31, 2, 0
	s_delay_alu instid0(VALU_DEP_4) | instskip(NEXT) | instid1(VALU_DEP_4)
	v_lshrrev_b16 v26, 3, v5
	v_sub_nc_u16 v5, v11, v7
	s_delay_alu instid0(VALU_DEP_4) | instskip(NEXT) | instid1(VALU_DEP_3)
	v_lshrrev_b16 v48, 3, v6
	v_mul_lo_u16 v6, v26, 11
	s_delay_alu instid0(VALU_DEP_3) | instskip(NEXT) | instid1(VALU_DEP_3)
	v_lshrrev_b16 v5, 1, v5
	v_mul_lo_u16 v8, v48, 11
	v_and_b32_e32 v26, 0xffff, v26
	v_and_b32_e32 v48, 0xffff, v48
	v_sub_nc_u16 v6, v27, v6
	v_and_b32_e32 v5, 0x7f, v5
	v_sub_nc_u16 v8, v31, v8
	v_mul_u32_u24_e32 v26, 0xdc, v26
	v_mul_u32_u24_e32 v48, 0xdc, v48
	v_and_b32_e32 v49, 0xff, v6
	v_add_nc_u16 v5, v5, v7
	v_and_b32_e32 v50, 0xff, v8
	s_delay_alu instid0(VALU_DEP_3) | instskip(NEXT) | instid1(VALU_DEP_3)
	v_lshlrev_b32_e32 v6, 4, v49
	v_lshrrev_b16 v51, 3, v5
	s_delay_alu instid0(VALU_DEP_3)
	v_lshlrev_b32_e32 v5, 4, v50
	v_lshlrev_b32_e32 v49, 2, v49
	;; [unrolled: 1-line block ×3, first 2 shown]
	s_clause 0x1
	global_load_b128 v[14:17], v6, s[8:9]
	global_load_b128 v[18:21], v5, s[8:9]
	v_mul_lo_u16 v6, v51, 11
	v_and_b32_e32 v51, 0xffff, v51
	v_add3_u32 v26, 0, v26, v49
	v_add3_u32 v48, 0, v48, v50
	s_delay_alu instid0(VALU_DEP_4) | instskip(SKIP_2) | instid1(VALU_DEP_3)
	v_sub_nc_u16 v5, v11, v6
	v_mov_b32_e32 v6, 0
	v_mul_u32_u24_e32 v51, 0xdc, v51
	v_and_b32_e32 v52, 0xff, v5
	s_delay_alu instid0(VALU_DEP_1)
	v_lshlrev_b32_e32 v5, 4, v52
	v_lshlrev_b32_e32 v52, 2, v52
	global_load_b128 v[22:25], v5, s[8:9]
	v_lshlrev_b32_e32 v5, 2, v27
	ds_load_2addr_b32 v[7:8], v0 offset1:220
	ds_load_2addr_b32 v[34:35], v29 offset0:19 offset1:74
	ds_load_2addr_b32 v[36:37], v30 offset0:93 offset1:148
	ds_load_2addr_b32 v[38:39], v29 offset0:129 offset1:184
	ds_load_2addr_b32 v[40:41], v28 offset0:75 offset1:130
	v_add3_u32 v49, 0, v51, v52
	v_lshlrev_b64_e32 v[42:43], 2, v[5:6]
	ds_load_b32 v5, v9
	ds_load_2addr_b32 v[44:45], v12 offset0:111 offset1:166
	ds_load_2addr_b32 v[46:47], v10 offset0:110 offset1:165
	global_wb scope:SCOPE_SE
	s_wait_loadcnt_dscnt 0x0
	s_barrier_signal -1
	s_barrier_wait -1
	global_inv scope:SCOPE_SE
	v_add_co_u32 v42, s0, s8, v42
	s_wait_alu 0xf1ff
	v_add_co_ci_u32_e64 v43, s0, s9, v43, s0
	v_lshrrev_b32_e32 v53, 16, v8
	v_lshrrev_b32_e32 v60, 16, v35
	;; [unrolled: 1-line block ×23, first 2 shown]
	v_mul_f16_e32 v73, v50, v65
	v_mul_f16_e32 v50, v50, v47
	;; [unrolled: 1-line block ×16, first 2 shown]
	v_lshrrev_b32_e32 v81, 16, v22
	v_lshrrev_b32_e32 v82, 16, v23
	;; [unrolled: 1-line block ×4, first 2 shown]
	v_fmac_f16_e32 v73, v14, v47
	v_fma_f16 v14, v14, v65, -v50
	v_fmac_f16_e32 v74, v15, v35
	v_fma_f16 v15, v15, v60, -v51
	;; [unrolled: 2-line block ×8, first 2 shown]
	v_mul_f16_e32 v21, v56, v81
	v_mul_f16_e32 v35, v34, v81
	;; [unrolled: 1-line block ×8, first 2 shown]
	v_fmac_f16_e32 v21, v34, v22
	v_fma_f16 v22, v56, v22, -v35
	v_fmac_f16_e32 v37, v39, v23
	v_fma_f16 v23, v57, v23, -v38
	;; [unrolled: 2-line block ×4, first 2 shown]
	v_add_f16_e32 v34, v7, v73
	v_add_f16_e32 v35, v74, v75
	v_sub_f16_e32 v36, v14, v17
	v_sub_f16_e32 v39, v73, v74
	;; [unrolled: 1-line block ×3, first 2 shown]
	v_add_f16_e32 v44, v73, v76
	v_sub_f16_e32 v47, v74, v73
	v_sub_f16_e32 v50, v75, v76
	v_add_f16_e32 v51, v33, v14
	v_add_f16_e32 v52, v15, v16
	v_sub_f16_e32 v55, v14, v15
	v_sub_f16_e32 v56, v17, v16
	v_add_f16_e32 v57, v14, v17
	v_sub_f16_e32 v14, v15, v14
	v_sub_f16_e32 v58, v16, v17
	v_add_f16_e32 v59, v5, v77
	v_add_f16_e32 v60, v78, v79
	v_sub_f16_e32 v65, v77, v78
	v_sub_f16_e32 v66, v80, v79
	v_add_f16_e32 v68, v77, v80
	;; [unrolled: 4-line block ×3, first 2 shown]
	v_add_f16_e32 v83, v8, v20
	v_sub_f16_e32 v38, v15, v16
	v_sub_f16_e32 v53, v73, v76
	;; [unrolled: 1-line block ×5, first 2 shown]
	v_add_f16_e32 v34, v34, v74
	v_fma_f16 v35, -0.5, v35, v7
	v_add_f16_e32 v39, v39, v41
	v_fmac_f16_e32 v7, -0.5, v44
	v_add_f16_e32 v41, v47, v50
	v_add_f16_e32 v15, v51, v15
	v_fma_f16 v44, -0.5, v52, v33
	v_add_f16_e32 v47, v55, v56
	v_add_f16_e32 v14, v14, v58
	;; [unrolled: 1-line block ×3, first 2 shown]
	v_fma_f16 v51, -0.5, v60, v5
	v_add_f16_e32 v52, v65, v66
	v_fmac_f16_e32 v5, -0.5, v68
	v_fma_f16 v56, -0.5, v72, v62
	v_add_f16_e32 v58, v46, v21
	v_add_f16_e32 v59, v37, v40
	v_sub_f16_e32 v66, v21, v37
	v_sub_f16_e32 v68, v45, v40
	v_add_f16_e32 v72, v64, v22
	v_add_f16_e32 v74, v23, v24
	v_sub_f16_e32 v61, v8, v20
	v_sub_f16_e32 v63, v18, v19
	;; [unrolled: 1-line block ×3, first 2 shown]
	v_fmac_f16_e32 v33, -0.5, v57
	v_add_f16_e32 v55, v69, v70
	v_add_f16_e32 v18, v71, v18
	v_fmac_f16_e32 v62, -0.5, v83
	v_add_f16_e32 v69, v21, v45
	v_add_f16_e32 v83, v22, v25
	v_sub_f16_e32 v73, v77, v80
	v_sub_f16_e32 v77, v78, v79
	;; [unrolled: 1-line block ×3, first 2 shown]
	v_add_f16_e32 v57, v81, v82
	v_sub_f16_e32 v60, v22, v25
	v_sub_f16_e32 v65, v23, v24
	v_sub_f16_e32 v70, v37, v21
	v_sub_f16_e32 v21, v21, v45
	v_sub_f16_e32 v78, v37, v40
	v_sub_f16_e32 v81, v22, v23
	v_sub_f16_e32 v22, v23, v22
	v_add_f16_e32 v34, v34, v75
	v_fmamk_f16 v75, v36, 0xbb9c, v35
	v_fmamk_f16 v85, v38, 0x3b9c, v7
	v_fmac_f16_e32 v7, 0xbb9c, v38
	v_add_f16_e32 v15, v15, v16
	v_fmamk_f16 v16, v53, 0x3b9c, v44
	v_add_f16_e32 v37, v58, v37
	v_fma_f16 v58, -0.5, v59, v46
	v_add_f16_e32 v59, v66, v68
	v_add_f16_e32 v23, v72, v23
	v_fma_f16 v68, -0.5, v74, v64
	v_fmac_f16_e32 v35, 0x3b9c, v36
	v_fmamk_f16 v86, v54, 0xbb9c, v33
	v_fmac_f16_e32 v33, 0x3b9c, v54
	v_add_f16_e32 v18, v18, v19
	v_fmac_f16_e32 v46, -0.5, v69
	v_fmac_f16_e32 v64, -0.5, v83
	v_fmac_f16_e32 v44, 0xbb9c, v53
	v_add_f16_e32 v50, v50, v79
	v_fmamk_f16 v79, v61, 0xbb9c, v51
	v_fmamk_f16 v87, v63, 0x3b9c, v5
	v_fmac_f16_e32 v5, 0xbb9c, v63
	v_fmamk_f16 v19, v73, 0x3b9c, v56
	v_fmamk_f16 v88, v77, 0xbb9c, v62
	v_fmac_f16_e32 v62, 0x3b9c, v77
	v_fmac_f16_e32 v51, 0x3b9c, v61
	;; [unrolled: 1-line block ×3, first 2 shown]
	v_add_f16_e32 v8, v8, v84
	v_sub_f16_e32 v82, v25, v24
	v_sub_f16_e32 v84, v24, v25
	v_fmac_f16_e32 v75, 0xb8b4, v38
	v_fmac_f16_e32 v85, 0xb8b4, v36
	;; [unrolled: 1-line block ×4, first 2 shown]
	v_fmamk_f16 v36, v60, 0xbb9c, v58
	v_add_f16_e32 v23, v23, v24
	v_fmamk_f16 v24, v21, 0x3b9c, v68
	v_sub_f16_e32 v71, v40, v45
	v_fmac_f16_e32 v35, 0x38b4, v38
	v_fmac_f16_e32 v86, 0x38b4, v53
	;; [unrolled: 1-line block ×3, first 2 shown]
	v_add_f16_e32 v18, v18, v20
	v_add_f16_e32 v20, v37, v40
	v_fmamk_f16 v37, v65, 0x3b9c, v46
	v_fmac_f16_e32 v46, 0xbb9c, v65
	v_fmamk_f16 v38, v78, 0xbb9c, v64
	v_fmac_f16_e32 v64, 0x3b9c, v78
	v_fmac_f16_e32 v44, 0xb8b4, v54
	;; [unrolled: 1-line block ×12, first 2 shown]
	v_add_f16_e32 v69, v81, v82
	v_add_f16_e32 v34, v34, v76
	;; [unrolled: 1-line block ×3, first 2 shown]
	v_fmac_f16_e32 v75, 0x34f2, v39
	v_fmac_f16_e32 v16, 0x34f2, v47
	;; [unrolled: 1-line block ×4, first 2 shown]
	v_add_f16_e32 v66, v70, v71
	v_add_f16_e32 v22, v22, v84
	;; [unrolled: 1-line block ×3, first 2 shown]
	v_fmac_f16_e32 v85, 0x34f2, v41
	v_fmac_f16_e32 v7, 0x34f2, v41
	;; [unrolled: 1-line block ×20, first 2 shown]
	v_add_f16_e32 v8, v20, v45
	v_add_f16_e32 v14, v23, v25
	v_pack_b32_f16 v15, v34, v15
	v_fmac_f16_e32 v36, 0x34f2, v59
	v_fmac_f16_e32 v24, 0x34f2, v69
	v_pack_b32_f16 v16, v75, v16
	v_pack_b32_f16 v17, v17, v18
	v_fmac_f16_e32 v37, 0x34f2, v66
	v_fmac_f16_e32 v46, 0x34f2, v66
	;; [unrolled: 1-line block ×4, first 2 shown]
	v_pack_b32_f16 v18, v85, v86
	v_pack_b32_f16 v7, v7, v33
	v_fmac_f16_e32 v58, 0x34f2, v59
	v_fmac_f16_e32 v68, 0x34f2, v69
	v_pack_b32_f16 v20, v35, v44
	v_pack_b32_f16 v19, v79, v19
	;; [unrolled: 1-line block ×6, first 2 shown]
	ds_store_2addr_b32 v26, v15, v16 offset1:11
	ds_store_2addr_b32 v26, v18, v7 offset0:22 offset1:33
	ds_store_b32 v26, v20 offset:176
	ds_store_2addr_b32 v48, v17, v19 offset1:11
	v_pack_b32_f16 v7, v36, v24
	v_pack_b32_f16 v14, v37, v38
	;; [unrolled: 1-line block ×4, first 2 shown]
	ds_store_2addr_b32 v48, v21, v5 offset0:22 offset1:33
	ds_store_b32 v48, v22 offset:176
	ds_store_2addr_b32 v49, v8, v7 offset1:11
	ds_store_2addr_b32 v49, v14, v15 offset0:22 offset1:33
	ds_store_b32 v49, v16 offset:176
	v_mov_b32_e32 v8, v6
	v_sub_nc_u16 v13, v11, v13
	global_wb scope:SCOPE_SE
	s_wait_dscnt 0x0
	s_barrier_signal -1
	s_barrier_wait -1
	global_inv scope:SCOPE_SE
	v_and_b32_e32 v13, 0xff, v13
	v_lshlrev_b32_e32 v22, 1, v11
	v_lshlrev_b32_e32 v7, 1, v31
	;; [unrolled: 1-line block ×3, first 2 shown]
	v_mov_b32_e32 v23, v6
	v_lshlrev_b32_e32 v67, 4, v13
	s_clause 0x1
	global_load_b128 v[14:17], v[42:43], off offset:176
	global_load_b128 v[18:21], v67, s[8:9] offset:176
	ds_load_2addr_b32 v[35:36], v0 offset1:220
	ds_load_2addr_b32 v[37:38], v10 offset0:110 offset1:165
	ds_load_2addr_b32 v[39:40], v29 offset0:19 offset1:74
	;; [unrolled: 1-line block ×3, first 2 shown]
	ds_load_b32 v11, v9
	ds_load_2addr_b32 v[43:44], v29 offset0:129 offset1:184
	ds_load_2addr_b32 v[45:46], v28 offset0:75 offset1:130
	;; [unrolled: 1-line block ×3, first 2 shown]
	ds_load_u16 v31, v0 offset:882
	v_lshlrev_b64_e32 v[33:34], 2, v[5:6]
	v_lshlrev_b64_e32 v[7:8], 2, v[7:8]
	v_dual_mov_b32 v25, v6 :: v_dual_add_nc_u32 v24, 0x14a, v5
	v_lshlrev_b64_e32 v[22:23], 2, v[22:23]
	v_add_nc_u32_e32 v5, 0x1b8, v5
	v_add_co_u32 v33, s0, s8, v33
	s_wait_alu 0xf1ff
	v_add_co_ci_u32_e64 v34, s0, s9, v34, s0
	v_lshlrev_b64_e32 v[24:25], 2, v[24:25]
	s_wait_dscnt 0x8
	v_lshrrev_b32_e32 v49, 16, v35
	s_wait_dscnt 0x7
	v_lshrrev_b32_e32 v59, 16, v38
	;; [unrolled: 2-line block ×4, first 2 shown]
	v_lshrrev_b32_e32 v52, 16, v42
	s_wait_dscnt 0x3
	v_lshrrev_b32_e32 v51, 16, v43
	s_wait_dscnt 0x2
	;; [unrolled: 2-line block ×3, first 2 shown]
	v_lshrrev_b32_e32 v62, 16, v48
	v_lshrrev_b32_e32 v55, 16, v39
	;; [unrolled: 1-line block ×7, first 2 shown]
	v_add_co_u32 v7, s0, s8, v7
	s_wait_alu 0xf1ff
	v_add_co_ci_u32_e64 v8, s0, s9, v8, s0
	v_lshlrev_b64_e32 v[5:6], 2, v[5:6]
	v_add_co_u32 v22, s0, s8, v22
	s_wait_alu 0xf1ff
	v_add_co_ci_u32_e64 v23, s0, s9, v23, s0
	v_lshl_add_u32 v13, v13, 2, 0
	v_add_co_u32 v24, s0, s8, v24
	s_wait_alu 0xf1ff
	v_add_co_ci_u32_e64 v25, s0, s9, v25, s0
	v_add_co_u32 v5, s0, s8, v5
	v_add_nc_u32_e32 v26, 0x800, v13
	global_wb scope:SCOPE_SE
	s_wait_loadcnt_dscnt 0x0
	s_barrier_signal -1
	s_barrier_wait -1
	global_inv scope:SCOPE_SE
	s_wait_alu 0xf1ff
	v_add_co_ci_u32_e64 v6, s0, s9, v6, s0
	v_lshrrev_b32_e32 v63, 16, v14
	v_lshrrev_b32_e32 v64, 16, v15
	;; [unrolled: 1-line block ×8, first 2 shown]
	v_mul_f16_e32 v71, v63, v59
	v_mul_f16_e32 v72, v63, v38
	;; [unrolled: 1-line block ×24, first 2 shown]
	v_fmac_f16_e32 v71, v14, v38
	v_fma_f16 v38, v14, v59, -v72
	v_fmac_f16_e32 v73, v15, v40
	v_fma_f16 v40, v15, v60, -v74
	v_fmac_f16_e32 v75, v16, v41
	v_fma_f16 v41, v16, v61, -v76
	v_fmac_f16_e32 v77, v17, v48
	v_fma_f16 v48, v17, v62, -v78
	v_fmac_f16_e32 v79, v14, v36
	v_fma_f16 v14, v31, v14, -v63
	v_fmac_f16_e32 v80, v43, v15
	v_fma_f16 v15, v51, v15, -v64
	v_fmac_f16_e32 v81, v42, v16
	v_fma_f16 v16, v52, v16, -v65
	v_fmac_f16_e32 v82, v45, v17
	v_fma_f16 v17, v53, v17, -v66
	v_fmac_f16_e32 v83, v39, v18
	v_fma_f16 v18, v55, v18, -v67
	v_fmac_f16_e32 v84, v44, v19
	v_fma_f16 v19, v56, v19, -v68
	v_fmac_f16_e32 v85, v47, v20
	v_fma_f16 v20, v57, v20, -v69
	v_fmac_f16_e32 v86, v46, v21
	v_fma_f16 v21, v58, v21, -v70
	v_add_f16_e32 v36, v73, v75
	v_sub_f16_e32 v39, v38, v48
	v_add_f16_e32 v45, v71, v77
	v_sub_f16_e32 v46, v73, v71
	v_sub_f16_e32 v47, v75, v77
	v_add_f16_e32 v51, v49, v38
	v_add_f16_e32 v52, v40, v41
	v_sub_f16_e32 v56, v38, v40
	v_sub_f16_e32 v57, v48, v41
	v_add_f16_e32 v58, v38, v48
	v_sub_f16_e32 v38, v40, v38
	v_sub_f16_e32 v59, v41, v48
	;; [unrolled: 3-line block ×3, first 2 shown]
	v_add_f16_e32 v61, v80, v81
	v_add_f16_e32 v66, v79, v82
	;; [unrolled: 1-line block ×5, first 2 shown]
	v_sub_f16_e32 v42, v40, v41
	v_sub_f16_e32 v53, v71, v77
	v_add_f16_e32 v88, v84, v85
	v_add_f16_e32 v93, v83, v86
	v_fma_f16 v36, -0.5, v36, v35
	v_fmac_f16_e32 v35, -0.5, v45
	v_add_f16_e32 v45, v54, v18
	v_add_f16_e32 v46, v46, v47
	;; [unrolled: 1-line block ×5, first 2 shown]
	v_sub_f16_e32 v57, v18, v19
	v_fma_f16 v52, -0.5, v52, v49
	v_fmac_f16_e32 v49, -0.5, v58
	v_sub_f16_e32 v58, v21, v20
	v_add_f16_e32 v38, v38, v59
	v_add_f16_e32 v59, v18, v21
	v_sub_f16_e32 v55, v73, v75
	v_sub_f16_e32 v64, v79, v80
	;; [unrolled: 1-line block ×5, first 2 shown]
	v_add_f16_e32 v87, v37, v83
	v_add_f16_e32 v60, v11, v79
	v_sub_f16_e32 v62, v14, v17
	v_sub_f16_e32 v63, v15, v16
	;; [unrolled: 1-line block ×7, first 2 shown]
	v_add_f16_e32 v31, v31, v73
	v_sub_f16_e32 v73, v84, v83
	v_add_f16_e32 v43, v43, v44
	v_sub_f16_e32 v44, v85, v86
	v_fma_f16 v61, -0.5, v61, v11
	v_fmac_f16_e32 v11, -0.5, v66
	v_add_f16_e32 v15, v69, v15
	v_fma_f16 v66, -0.5, v70, v50
	v_fmac_f16_e32 v50, -0.5, v78
	v_sub_f16_e32 v79, v16, v17
	v_sub_f16_e32 v89, v18, v21
	;; [unrolled: 1-line block ×7, first 2 shown]
	v_fma_f16 v69, -0.5, v88, v37
	v_fmac_f16_e32 v37, -0.5, v93
	v_add_f16_e32 v19, v45, v19
	v_fma_f16 v45, -0.5, v47, v54
	v_add_f16_e32 v47, v57, v58
	v_fmac_f16_e32 v54, -0.5, v59
	v_fmamk_f16 v57, v39, 0xbb9c, v36
	v_add_f16_e32 v40, v40, v41
	v_fmamk_f16 v41, v53, 0x3b9c, v52
	v_add_f16_e32 v64, v64, v65
	v_add_f16_e32 v65, v67, v68
	;; [unrolled: 1-line block ×3, first 2 shown]
	v_fmamk_f16 v58, v42, 0x3b9c, v35
	v_fmac_f16_e32 v35, 0xbb9c, v42
	v_fmamk_f16 v59, v55, 0xbb9c, v49
	v_fmac_f16_e32 v49, 0x3b9c, v55
	v_add_f16_e32 v60, v60, v80
	v_fmac_f16_e32 v36, 0x3b9c, v39
	v_fmac_f16_e32 v52, 0xbb9c, v53
	v_add_f16_e32 v67, v74, v76
	v_add_f16_e32 v44, v73, v44
	;; [unrolled: 1-line block ×3, first 2 shown]
	v_fmamk_f16 v73, v62, 0xbb9c, v61
	v_fmamk_f16 v74, v63, 0x3b9c, v11
	v_add_f16_e32 v15, v15, v16
	v_fmamk_f16 v16, v71, 0x3b9c, v66
	v_fmamk_f16 v75, v72, 0xbb9c, v50
	v_fmac_f16_e32 v61, 0x3b9c, v62
	v_fmac_f16_e32 v11, 0xbb9c, v63
	;; [unrolled: 1-line block ×4, first 2 shown]
	v_sub_f16_e32 v92, v86, v85
	v_sub_f16_e32 v80, v20, v21
	v_add_f16_e32 v14, v14, v79
	v_fmamk_f16 v76, v89, 0xbb9c, v69
	v_fmac_f16_e32 v69, 0x3b9c, v89
	v_fmamk_f16 v78, v90, 0x3b9c, v37
	v_fmac_f16_e32 v37, 0xbb9c, v90
	v_add_f16_e32 v19, v19, v20
	v_fmamk_f16 v20, v83, 0x3b9c, v45
	v_fmac_f16_e32 v45, 0xbb9c, v83
	v_fmamk_f16 v79, v51, 0xbb9c, v54
	v_fmac_f16_e32 v54, 0x3b9c, v51
	v_fmac_f16_e32 v57, 0xb8b4, v42
	v_fmac_f16_e32 v41, 0x38b4, v55
	v_add_f16_e32 v68, v68, v85
	v_fmac_f16_e32 v58, 0xb8b4, v39
	v_fmac_f16_e32 v35, 0x38b4, v39
	;; [unrolled: 1-line block ×4, first 2 shown]
	v_add_f16_e32 v60, v60, v81
	v_fmac_f16_e32 v36, 0x38b4, v42
	v_fmac_f16_e32 v52, 0xb8b4, v55
	;; [unrolled: 1-line block ×10, first 2 shown]
	v_add_f16_e32 v70, v91, v92
	v_add_f16_e32 v18, v18, v80
	;; [unrolled: 1-line block ×4, first 2 shown]
	v_fmac_f16_e32 v76, 0xb8b4, v90
	v_fmac_f16_e32 v69, 0x38b4, v90
	;; [unrolled: 1-line block ×10, first 2 shown]
	v_add_f16_e32 v15, v15, v17
	v_add_f16_e32 v17, v68, v86
	;; [unrolled: 1-line block ×3, first 2 shown]
	v_fmac_f16_e32 v58, 0x34f2, v46
	v_fmac_f16_e32 v35, 0x34f2, v46
	v_fmac_f16_e32 v59, 0x34f2, v38
	v_fmac_f16_e32 v49, 0x34f2, v38
	v_add_f16_e32 v40, v60, v82
	v_fmac_f16_e32 v36, 0x34f2, v43
	v_fmac_f16_e32 v52, 0x34f2, v56
	;; [unrolled: 1-line block ×18, first 2 shown]
	v_pack_b32_f16 v14, v31, v39
	v_pack_b32_f16 v18, v57, v41
	;; [unrolled: 1-line block ×15, first 2 shown]
	ds_store_2addr_b32 v0, v14, v18 offset1:55
	ds_store_2addr_b32 v0, v19, v21 offset0:110 offset1:165
	ds_store_2addr_b32 v32, v31, v15 offset0:92 offset1:147
	;; [unrolled: 1-line block ×6, first 2 shown]
	ds_store_b32 v13, v39 offset:3080
	global_wb scope:SCOPE_SE
	s_wait_dscnt 0x0
	s_barrier_signal -1
	s_barrier_wait -1
	global_inv scope:SCOPE_SE
	s_clause 0x4
	global_load_b64 v[13:14], v[33:34], off offset:1056
	global_load_b64 v[7:8], v[7:8], off offset:1056
	;; [unrolled: 1-line block ×5, first 2 shown]
	ds_load_2addr_b32 v[19:20], v0 offset1:220
	ds_load_b32 v32, v9
	ds_load_2addr_b32 v[21:22], v10 offset0:110 offset1:165
	ds_load_2addr_b32 v[23:24], v29 offset0:129 offset1:184
	;; [unrolled: 1-line block ×6, first 2 shown]
	v_add_nc_u32_e32 v33, 0x400, v10
	v_add_nc_u32_e32 v34, 0x800, v10
	global_wb scope:SCOPE_SE
	s_wait_loadcnt_dscnt 0x0
	s_barrier_signal -1
	s_barrier_wait -1
	global_inv scope:SCOPE_SE
	v_lshrrev_b32_e32 v35, 16, v19
	v_lshrrev_b32_e32 v36, 16, v32
	;; [unrolled: 1-line block ×25, first 2 shown]
	v_mul_f16_e32 v60, v50, v46
	v_mul_f16_e32 v50, v50, v28
	;; [unrolled: 1-line block ×20, first 2 shown]
	v_fmac_f16_e32 v60, v13, v28
	v_fma_f16 v13, v13, v46, -v50
	v_fmac_f16_e32 v61, v14, v12
	v_fma_f16 v12, v14, v47, -v51
	;; [unrolled: 2-line block ×10, first 2 shown]
	v_add_f16_e32 v18, v60, v61
	v_sub_f16_e32 v23, v13, v12
	v_add_f16_e32 v24, v35, v13
	v_add_f16_e32 v13, v13, v12
	;; [unrolled: 1-line block ×3, first 2 shown]
	v_sub_f16_e32 v29, v7, v8
	v_add_f16_e32 v30, v36, v7
	v_add_f16_e32 v7, v7, v8
	v_add_f16_e32 v11, v19, v60
	v_add_f16_e32 v39, v64, v65
	v_sub_f16_e32 v41, v14, v15
	v_add_f16_e32 v42, v37, v14
	v_add_f16_e32 v14, v14, v15
	;; [unrolled: 1-line block ×3, first 2 shown]
	v_sub_f16_e32 v47, v16, v17
	v_add_f16_e32 v48, v40, v16
	v_add_f16_e32 v16, v16, v17
	;; [unrolled: 1-line block ×3, first 2 shown]
	v_sub_f16_e32 v52, v5, v6
	v_add_f16_e32 v53, v43, v5
	v_add_f16_e32 v5, v5, v6
	v_sub_f16_e32 v25, v60, v61
	v_fma_f16 v18, -0.5, v18, v19
	v_fmac_f16_e32 v35, -0.5, v13
	v_add_f16_e32 v26, v32, v62
	v_sub_f16_e32 v31, v62, v63
	v_add_f16_e32 v45, v22, v66
	v_fmac_f16_e32 v32, -0.5, v28
	v_fmac_f16_e32 v36, -0.5, v7
	v_add_f16_e32 v38, v21, v64
	v_sub_f16_e32 v44, v64, v65
	v_sub_f16_e32 v49, v66, v67
	v_add_f16_e32 v50, v20, v68
	v_sub_f16_e32 v54, v68, v69
	v_add_f16_e32 v11, v11, v61
	v_add_f16_e32 v12, v24, v12
	v_fma_f16 v19, -0.5, v39, v21
	v_fmac_f16_e32 v37, -0.5, v14
	v_fmac_f16_e32 v22, -0.5, v46
	;; [unrolled: 1-line block ×5, first 2 shown]
	v_fmamk_f16 v5, v23, 0xbaee, v18
	v_fmamk_f16 v21, v25, 0x3aee, v35
	v_add_f16_e32 v13, v26, v63
	v_add_f16_e32 v8, v30, v8
	v_fmac_f16_e32 v18, 0x3aee, v23
	v_fmac_f16_e32 v35, 0xbaee, v25
	v_add_f16_e32 v14, v45, v67
	v_add_f16_e32 v17, v48, v17
	v_fmamk_f16 v23, v29, 0xbaee, v32
	v_fmamk_f16 v24, v31, 0x3aee, v36
	v_add_f16_e32 v7, v38, v65
	v_add_f16_e32 v15, v42, v15
	;; [unrolled: 1-line block ×4, first 2 shown]
	v_fmac_f16_e32 v32, 0x3aee, v29
	v_fmac_f16_e32 v36, 0xbaee, v31
	v_fmamk_f16 v25, v41, 0xbaee, v19
	v_fmac_f16_e32 v19, 0x3aee, v41
	v_fmamk_f16 v26, v44, 0x3aee, v37
	;; [unrolled: 2-line block ×6, first 2 shown]
	v_fmac_f16_e32 v43, 0xbaee, v54
	v_pack_b32_f16 v11, v11, v12
	v_pack_b32_f16 v5, v5, v21
	;; [unrolled: 1-line block ×15, first 2 shown]
	ds_store_b32 v0, v11
	ds_store_b32 v0, v5 offset:1100
	ds_store_b32 v0, v13 offset:2200
	ds_store_b32 v9, v8
	ds_store_b32 v9, v14 offset:1100
	ds_store_b32 v9, v15 offset:2200
	ds_store_2addr_b32 v10, v7, v12 offset0:110 offset1:165
	ds_store_2addr_b32 v33, v16, v18 offset0:129 offset1:184
	;; [unrolled: 1-line block ×3, first 2 shown]
	ds_store_b32 v0, v6 offset:880
	ds_store_b32 v0, v21 offset:1980
	;; [unrolled: 1-line block ×3, first 2 shown]
	global_wb scope:SCOPE_SE
	s_wait_dscnt 0x0
	s_barrier_signal -1
	s_barrier_wait -1
	global_inv scope:SCOPE_SE
	s_and_saveexec_b32 s0, vcc_lo
	s_cbranch_execz .LBB0_17
; %bb.16:
	v_mul_lo_u32 v0, s3, v3
	v_mul_lo_u32 v7, s2, v4
	v_mad_co_u64_u32 v[3:4], null, s2, v3, 0
	v_mad_co_u64_u32 v[5:6], null, s16, v27, 0
	v_add_nc_u32_e32 v12, 55, v27
	v_lshl_add_u32 v21, v27, 2, 0
	v_add_nc_u32_e32 v16, 0xdc, v27
	v_add_nc_u32_e32 v18, 0x14a, v27
	v_add3_u32 v4, v4, v7, v0
	v_mad_co_u64_u32 v[7:8], null, s16, v12, 0
	v_mov_b32_e32 v0, v6
	v_add_nc_u32_e32 v24, 0x400, v21
	s_delay_alu instid0(VALU_DEP_4)
	v_lshlrev_b64_e32 v[3:4], 2, v[3:4]
	v_add_nc_u32_e32 v17, 0x113, v27
	v_add_nc_u32_e32 v20, 0x1b8, v27
	v_mad_co_u64_u32 v[9:10], null, s17, v27, v[0:1]
	v_lshlrev_b64_e32 v[1:2], 2, v[1:2]
	v_mov_b32_e32 v0, v8
	v_add_co_u32 v8, vcc_lo, s6, v3
	s_wait_alu 0xfffd
	v_add_co_ci_u32_e32 v14, vcc_lo, s7, v4, vcc_lo
	v_dual_mov_b32 v6, v9 :: v_dual_add_nc_u32 v9, 0x6e, v27
	v_mad_co_u64_u32 v[3:4], null, s17, v12, v[0:1]
	v_add_co_u32 v22, vcc_lo, v8, v1
	s_delay_alu instid0(VALU_DEP_3)
	v_mad_co_u64_u32 v[12:13], null, s16, v9, 0
	s_wait_alu 0xfffd
	v_add_co_ci_u32_e32 v23, vcc_lo, v14, v2, vcc_lo
	v_add_nc_u32_e32 v14, 0xa5, v27
	ds_load_2addr_b32 v[10:11], v21 offset1:55
	v_dual_mov_b32 v8, v3 :: v_dual_add_nc_u32 v25, 0x1ef, v27
	v_mov_b32_e32 v2, v13
	v_mad_co_u64_u32 v[3:4], null, s16, v14, 0
	v_lshlrev_b64_e32 v[0:1], 2, v[5:6]
	s_delay_alu instid0(VALU_DEP_4) | instskip(NEXT) | instid1(VALU_DEP_3)
	v_lshlrev_b64_e32 v[5:6], 2, v[7:8]
	v_mad_co_u64_u32 v[7:8], null, s17, v9, v[2:3]
	s_delay_alu instid0(VALU_DEP_4) | instskip(NEXT) | instid1(VALU_DEP_4)
	v_mov_b32_e32 v2, v4
	v_add_co_u32 v0, vcc_lo, v22, v0
	s_wait_alu 0xfffd
	v_add_co_ci_u32_e32 v1, vcc_lo, v23, v1, vcc_lo
	s_delay_alu instid0(VALU_DEP_3)
	v_mad_co_u64_u32 v[8:9], null, s17, v14, v[2:3]
	v_add_co_u32 v4, vcc_lo, v22, v5
	s_wait_alu 0xfffd
	v_add_co_ci_u32_e32 v5, vcc_lo, v23, v6, vcc_lo
	v_mov_b32_e32 v13, v7
	v_mad_co_u64_u32 v[14:15], null, s16, v16, 0
	s_wait_dscnt 0x0
	s_clause 0x1
	global_store_b32 v[0:1], v10, off
	global_store_b32 v[4:5], v11, off
	ds_load_2addr_b32 v[0:1], v21 offset0:110 offset1:165
	v_mov_b32_e32 v4, v8
	v_lshlrev_b64_e32 v[5:6], 2, v[12:13]
	v_mad_co_u64_u32 v[7:8], null, s16, v17, 0
	v_mov_b32_e32 v2, v15
	s_delay_alu instid0(VALU_DEP_4) | instskip(NEXT) | instid1(VALU_DEP_4)
	v_lshlrev_b64_e32 v[3:4], 2, v[3:4]
	v_add_co_u32 v5, vcc_lo, v22, v5
	s_wait_alu 0xfffd
	v_add_co_ci_u32_e32 v6, vcc_lo, v23, v6, vcc_lo
	s_delay_alu instid0(VALU_DEP_3)
	v_mad_co_u64_u32 v[9:10], null, s17, v16, v[2:3]
	v_mov_b32_e32 v2, v8
	v_add_co_u32 v3, vcc_lo, v22, v3
	s_wait_alu 0xfffd
	v_add_co_ci_u32_e32 v4, vcc_lo, v23, v4, vcc_lo
	s_wait_dscnt 0x0
	s_clause 0x1
	global_store_b32 v[5:6], v0, off
	global_store_b32 v[3:4], v1, off
	v_mad_co_u64_u32 v[12:13], null, s17, v17, v[2:3]
	v_add_nc_u32_e32 v2, 0x200, v21
	v_mad_co_u64_u32 v[10:11], null, s16, v18, 0
	v_mov_b32_e32 v15, v9
	v_mad_co_u64_u32 v[16:17], null, s16, v25, 0
	ds_load_2addr_b32 v[1:2], v2 offset0:92 offset1:147
	v_mov_b32_e32 v8, v12
	v_lshlrev_b64_e32 v[3:4], 2, v[14:15]
	v_mov_b32_e32 v0, v11
	v_mad_co_u64_u32 v[14:15], null, s16, v20, 0
	s_delay_alu instid0(VALU_DEP_3) | instskip(SKIP_1) | instid1(VALU_DEP_4)
	v_add_co_u32 v3, vcc_lo, v22, v3
	s_wait_alu 0xfffd
	v_add_co_ci_u32_e32 v4, vcc_lo, v23, v4, vcc_lo
	s_wait_dscnt 0x0
	v_mad_co_u64_u32 v[5:6], null, s17, v18, v[0:1]
	v_add_nc_u32_e32 v18, 0x181, v27
	v_lshlrev_b64_e32 v[6:7], 2, v[7:8]
	ds_load_2addr_b32 v[8:9], v24 offset0:74 offset1:129
	global_store_b32 v[3:4], v1, off
	v_mad_co_u64_u32 v[12:13], null, s16, v18, 0
	v_mov_b32_e32 v11, v5
	v_add_co_u32 v5, vcc_lo, v22, v6
	s_wait_alu 0xfffd
	v_add_co_ci_u32_e32 v6, vcc_lo, v23, v7, vcc_lo
	s_delay_alu instid0(VALU_DEP_4)
	v_dual_mov_b32 v7, v15 :: v_dual_mov_b32 v0, v13
	v_lshlrev_b64_e32 v[10:11], 2, v[10:11]
	global_store_b32 v[5:6], v2, off
	ds_load_2addr_b32 v[2:3], v24 offset0:184 offset1:239
	v_mad_co_u64_u32 v[18:19], null, s17, v18, v[0:1]
	v_mov_b32_e32 v0, v17
	v_add_co_u32 v10, vcc_lo, v22, v10
	s_wait_dscnt 0x1
	v_mad_co_u64_u32 v[19:20], null, s17, v20, v[7:8]
	s_wait_alu 0xfffd
	v_add_co_ci_u32_e32 v11, vcc_lo, v23, v11, vcc_lo
	v_mov_b32_e32 v13, v18
	v_mad_co_u64_u32 v[17:18], null, s17, v25, v[0:1]
	global_store_b32 v[10:11], v8, off
	v_mov_b32_e32 v15, v19
	v_lshlrev_b64_e32 v[0:1], 2, v[12:13]
	v_add_nc_u32_e32 v8, 0x226, v27
	s_delay_alu instid0(VALU_DEP_3) | instskip(SKIP_1) | instid1(VALU_DEP_4)
	v_lshlrev_b64_e32 v[4:5], 2, v[14:15]
	v_lshlrev_b64_e32 v[6:7], 2, v[16:17]
	v_add_co_u32 v0, vcc_lo, v22, v0
	s_wait_alu 0xfffd
	v_add_co_ci_u32_e32 v1, vcc_lo, v23, v1, vcc_lo
	s_delay_alu instid0(VALU_DEP_4)
	v_add_co_u32 v4, vcc_lo, v22, v4
	s_wait_alu 0xfffd
	v_add_co_ci_u32_e32 v5, vcc_lo, v23, v5, vcc_lo
	v_add_co_u32 v6, vcc_lo, v22, v6
	v_mad_co_u64_u32 v[10:11], null, s16, v8, 0
	global_store_b32 v[0:1], v9, off
	v_add_nc_u32_e32 v9, 0x294, v27
	s_wait_alu 0xfffd
	v_add_co_ci_u32_e32 v7, vcc_lo, v23, v7, vcc_lo
	v_add_nc_u32_e32 v14, 0x25d, v27
	s_wait_dscnt 0x0
	s_clause 0x1
	global_store_b32 v[4:5], v2, off
	global_store_b32 v[6:7], v3, off
	v_mad_co_u64_u32 v[1:2], null, s16, v9, 0
	v_mad_co_u64_u32 v[12:13], null, s16, v14, 0
	v_dual_mov_b32 v0, v11 :: v_dual_add_nc_u32 v15, 0x2cb, v27
	v_add_nc_u32_e32 v17, 0x302, v27
	v_add_nc_u32_e32 v16, 0x800, v21
	s_delay_alu instid0(VALU_DEP_3) | instskip(SKIP_1) | instid1(VALU_DEP_1)
	v_mad_co_u64_u32 v[4:5], null, s17, v8, v[0:1]
	v_dual_mov_b32 v3, v13 :: v_dual_mov_b32 v0, v2
	v_mad_co_u64_u32 v[5:6], null, s17, v14, v[3:4]
	v_mad_co_u64_u32 v[6:7], null, s16, v15, 0
	v_mov_b32_e32 v11, v4
	s_delay_alu instid0(VALU_DEP_4)
	v_mad_co_u64_u32 v[2:3], null, s17, v9, v[0:1]
	ds_load_2addr_b32 v[3:4], v16 offset0:38 offset1:93
	v_mov_b32_e32 v13, v5
	v_lshlrev_b64_e32 v[8:9], 2, v[10:11]
	v_mad_co_u64_u32 v[10:11], null, s16, v17, 0
	v_mov_b32_e32 v0, v7
	s_delay_alu instid0(VALU_DEP_3) | instskip(NEXT) | instid1(VALU_DEP_2)
	v_add_co_u32 v8, vcc_lo, v22, v8
	v_mad_co_u64_u32 v[14:15], null, s17, v15, v[0:1]
	v_lshlrev_b64_e32 v[1:2], 2, v[1:2]
	v_mov_b32_e32 v0, v11
	v_lshlrev_b64_e32 v[11:12], 2, v[12:13]
	s_wait_alu 0xfffd
	v_add_co_ci_u32_e32 v9, vcc_lo, v23, v9, vcc_lo
	ds_load_2addr_b32 v[15:16], v16 offset0:148 offset1:203
	v_mad_co_u64_u32 v[17:18], null, s17, v17, v[0:1]
	v_add_co_u32 v13, vcc_lo, v22, v11
	v_mov_b32_e32 v7, v14
	s_wait_alu 0xfffd
	v_add_co_ci_u32_e32 v14, vcc_lo, v23, v12, vcc_lo
	ds_load_b32 v12, v21 offset:3080
	v_mov_b32_e32 v11, v17
	v_lshlrev_b64_e32 v[5:6], 2, v[6:7]
	v_add_co_u32 v0, vcc_lo, v22, v1
	s_wait_alu 0xfffd
	v_add_co_ci_u32_e32 v1, vcc_lo, v23, v2, vcc_lo
	v_lshlrev_b64_e32 v[10:11], 2, v[10:11]
	s_delay_alu instid0(VALU_DEP_4) | instskip(SKIP_2) | instid1(VALU_DEP_3)
	v_add_co_u32 v5, vcc_lo, v22, v5
	s_wait_alu 0xfffd
	v_add_co_ci_u32_e32 v6, vcc_lo, v23, v6, vcc_lo
	v_add_co_u32 v10, vcc_lo, v22, v10
	s_wait_alu 0xfffd
	v_add_co_ci_u32_e32 v11, vcc_lo, v23, v11, vcc_lo
	s_wait_dscnt 0x2
	s_clause 0x1
	global_store_b32 v[8:9], v3, off
	global_store_b32 v[13:14], v4, off
	s_wait_dscnt 0x1
	s_clause 0x1
	global_store_b32 v[0:1], v15, off
	global_store_b32 v[5:6], v16, off
	s_wait_dscnt 0x0
	global_store_b32 v[10:11], v12, off
.LBB0_17:
	s_nop 0
	s_sendmsg sendmsg(MSG_DEALLOC_VGPRS)
	s_endpgm
	.section	.rodata,"a",@progbits
	.p2align	6, 0x0
	.amdhsa_kernel fft_rtc_back_len825_factors_11_5_5_3_wgs_55_tpt_55_half_op_CI_CI_sbrr_dirReg
		.amdhsa_group_segment_fixed_size 0
		.amdhsa_private_segment_fixed_size 0
		.amdhsa_kernarg_size 104
		.amdhsa_user_sgpr_count 2
		.amdhsa_user_sgpr_dispatch_ptr 0
		.amdhsa_user_sgpr_queue_ptr 0
		.amdhsa_user_sgpr_kernarg_segment_ptr 1
		.amdhsa_user_sgpr_dispatch_id 0
		.amdhsa_user_sgpr_private_segment_size 0
		.amdhsa_wavefront_size32 1
		.amdhsa_uses_dynamic_stack 0
		.amdhsa_enable_private_segment 0
		.amdhsa_system_sgpr_workgroup_id_x 1
		.amdhsa_system_sgpr_workgroup_id_y 0
		.amdhsa_system_sgpr_workgroup_id_z 0
		.amdhsa_system_sgpr_workgroup_info 0
		.amdhsa_system_vgpr_workitem_id 0
		.amdhsa_next_free_vgpr 94
		.amdhsa_next_free_sgpr 43
		.amdhsa_reserve_vcc 1
		.amdhsa_float_round_mode_32 0
		.amdhsa_float_round_mode_16_64 0
		.amdhsa_float_denorm_mode_32 3
		.amdhsa_float_denorm_mode_16_64 3
		.amdhsa_fp16_overflow 0
		.amdhsa_workgroup_processor_mode 1
		.amdhsa_memory_ordered 1
		.amdhsa_forward_progress 0
		.amdhsa_round_robin_scheduling 0
		.amdhsa_exception_fp_ieee_invalid_op 0
		.amdhsa_exception_fp_denorm_src 0
		.amdhsa_exception_fp_ieee_div_zero 0
		.amdhsa_exception_fp_ieee_overflow 0
		.amdhsa_exception_fp_ieee_underflow 0
		.amdhsa_exception_fp_ieee_inexact 0
		.amdhsa_exception_int_div_zero 0
	.end_amdhsa_kernel
	.text
.Lfunc_end0:
	.size	fft_rtc_back_len825_factors_11_5_5_3_wgs_55_tpt_55_half_op_CI_CI_sbrr_dirReg, .Lfunc_end0-fft_rtc_back_len825_factors_11_5_5_3_wgs_55_tpt_55_half_op_CI_CI_sbrr_dirReg
                                        ; -- End function
	.section	.AMDGPU.csdata,"",@progbits
; Kernel info:
; codeLenInByte = 13492
; NumSgprs: 45
; NumVgprs: 94
; ScratchSize: 0
; MemoryBound: 0
; FloatMode: 240
; IeeeMode: 1
; LDSByteSize: 0 bytes/workgroup (compile time only)
; SGPRBlocks: 5
; VGPRBlocks: 11
; NumSGPRsForWavesPerEU: 45
; NumVGPRsForWavesPerEU: 94
; Occupancy: 16
; WaveLimiterHint : 1
; COMPUTE_PGM_RSRC2:SCRATCH_EN: 0
; COMPUTE_PGM_RSRC2:USER_SGPR: 2
; COMPUTE_PGM_RSRC2:TRAP_HANDLER: 0
; COMPUTE_PGM_RSRC2:TGID_X_EN: 1
; COMPUTE_PGM_RSRC2:TGID_Y_EN: 0
; COMPUTE_PGM_RSRC2:TGID_Z_EN: 0
; COMPUTE_PGM_RSRC2:TIDIG_COMP_CNT: 0
	.text
	.p2alignl 7, 3214868480
	.fill 96, 4, 3214868480
	.type	__hip_cuid_182a3a5192647947,@object ; @__hip_cuid_182a3a5192647947
	.section	.bss,"aw",@nobits
	.globl	__hip_cuid_182a3a5192647947
__hip_cuid_182a3a5192647947:
	.byte	0                               ; 0x0
	.size	__hip_cuid_182a3a5192647947, 1

	.ident	"AMD clang version 19.0.0git (https://github.com/RadeonOpenCompute/llvm-project roc-6.4.0 25133 c7fe45cf4b819c5991fe208aaa96edf142730f1d)"
	.section	".note.GNU-stack","",@progbits
	.addrsig
	.addrsig_sym __hip_cuid_182a3a5192647947
	.amdgpu_metadata
---
amdhsa.kernels:
  - .args:
      - .actual_access:  read_only
        .address_space:  global
        .offset:         0
        .size:           8
        .value_kind:     global_buffer
      - .offset:         8
        .size:           8
        .value_kind:     by_value
      - .actual_access:  read_only
        .address_space:  global
        .offset:         16
        .size:           8
        .value_kind:     global_buffer
      - .actual_access:  read_only
        .address_space:  global
        .offset:         24
        .size:           8
        .value_kind:     global_buffer
      - .actual_access:  read_only
        .address_space:  global
        .offset:         32
        .size:           8
        .value_kind:     global_buffer
      - .offset:         40
        .size:           8
        .value_kind:     by_value
      - .actual_access:  read_only
        .address_space:  global
        .offset:         48
        .size:           8
        .value_kind:     global_buffer
      - .actual_access:  read_only
        .address_space:  global
        .offset:         56
        .size:           8
        .value_kind:     global_buffer
      - .offset:         64
        .size:           4
        .value_kind:     by_value
      - .actual_access:  read_only
        .address_space:  global
        .offset:         72
        .size:           8
        .value_kind:     global_buffer
      - .actual_access:  read_only
        .address_space:  global
        .offset:         80
        .size:           8
        .value_kind:     global_buffer
      - .actual_access:  read_only
        .address_space:  global
        .offset:         88
        .size:           8
        .value_kind:     global_buffer
      - .actual_access:  write_only
        .address_space:  global
        .offset:         96
        .size:           8
        .value_kind:     global_buffer
    .group_segment_fixed_size: 0
    .kernarg_segment_align: 8
    .kernarg_segment_size: 104
    .language:       OpenCL C
    .language_version:
      - 2
      - 0
    .max_flat_workgroup_size: 55
    .name:           fft_rtc_back_len825_factors_11_5_5_3_wgs_55_tpt_55_half_op_CI_CI_sbrr_dirReg
    .private_segment_fixed_size: 0
    .sgpr_count:     45
    .sgpr_spill_count: 0
    .symbol:         fft_rtc_back_len825_factors_11_5_5_3_wgs_55_tpt_55_half_op_CI_CI_sbrr_dirReg.kd
    .uniform_work_group_size: 1
    .uses_dynamic_stack: false
    .vgpr_count:     94
    .vgpr_spill_count: 0
    .wavefront_size: 32
    .workgroup_processor_mode: 1
amdhsa.target:   amdgcn-amd-amdhsa--gfx1201
amdhsa.version:
  - 1
  - 2
...

	.end_amdgpu_metadata
